;; amdgpu-corpus repo=ROCm/rocFFT kind=compiled arch=gfx906 opt=O3
	.text
	.amdgcn_target "amdgcn-amd-amdhsa--gfx906"
	.amdhsa_code_object_version 6
	.protected	bluestein_single_fwd_len1680_dim1_sp_op_CI_CI ; -- Begin function bluestein_single_fwd_len1680_dim1_sp_op_CI_CI
	.globl	bluestein_single_fwd_len1680_dim1_sp_op_CI_CI
	.p2align	8
	.type	bluestein_single_fwd_len1680_dim1_sp_op_CI_CI,@function
bluestein_single_fwd_len1680_dim1_sp_op_CI_CI: ; @bluestein_single_fwd_len1680_dim1_sp_op_CI_CI
; %bb.0:
	s_load_dwordx4 s[12:15], s[4:5], 0x28
	v_mul_u32_u24_e32 v1, 0x24a, v0
	v_add_u32_sdwa v126, s6, v1 dst_sel:DWORD dst_unused:UNUSED_PAD src0_sel:DWORD src1_sel:WORD_1
	v_mov_b32_e32 v127, 0
	s_waitcnt lgkmcnt(0)
	v_cmp_gt_u64_e32 vcc, s[12:13], v[126:127]
	s_and_saveexec_b64 s[0:1], vcc
	s_cbranch_execz .LBB0_47
; %bb.1:
	s_load_dwordx4 s[0:3], s[4:5], 0x18
	s_load_dwordx2 s[16:17], s[4:5], 0x0
	s_waitcnt lgkmcnt(0)
	s_load_dwordx4 s[8:11], s[0:1], 0x0
	s_movk_i32 s0, 0x70
	v_mul_lo_u16_sdwa v1, v1, s0 dst_sel:DWORD dst_unused:UNUSED_PAD src0_sel:WORD_1 src1_sel:DWORD
	v_sub_u16_e32 v144, v0, v1
	v_lshlrev_b32_e32 v143, 3, v144
	s_waitcnt lgkmcnt(0)
	v_mad_u64_u32 v[0:1], s[0:1], s10, v126, 0
	v_mad_u64_u32 v[2:3], s[0:1], s8, v144, 0
	v_add_co_u32_e64 v141, s[6:7], s16, v143
	v_mad_u64_u32 v[4:5], s[0:1], s11, v126, v[1:2]
	global_load_dwordx2 v[127:128], v143, s[16:17]
	v_mad_u64_u32 v[5:6], s[0:1], s9, v144, v[3:4]
	v_mov_b32_e32 v1, v4
	v_lshlrev_b64 v[0:1], 3, v[0:1]
	v_mov_b32_e32 v6, s15
	v_mov_b32_e32 v3, v5
	v_add_co_u32_e32 v4, vcc, s14, v0
	v_addc_co_u32_e32 v5, vcc, v6, v1, vcc
	v_lshlrev_b64 v[0:1], 3, v[2:3]
	s_mul_i32 s0, s9, 0x348
	s_mul_hi_u32 s1, s8, 0x348
	v_add_co_u32_e32 v0, vcc, v4, v0
	v_mov_b32_e32 v2, s17
	s_add_i32 s1, s1, s0
	s_mul_i32 s0, s8, 0x348
	v_addc_co_u32_e32 v1, vcc, v5, v1, vcc
	v_addc_co_u32_e64 v142, vcc, 0, v2, s[6:7]
	s_lshl_b64 s[14:15], s[0:1], 3
	v_mov_b32_e32 v32, s15
	v_add_co_u32_e32 v2, vcc, s14, v0
	v_addc_co_u32_e32 v3, vcc, v1, v32, vcc
	s_movk_i32 s0, 0x1000
	s_mul_hi_u32 s1, s8, 0xfffffd28
	global_load_dwordx2 v[4:5], v[0:1], off
	global_load_dwordx2 v[6:7], v[2:3], off
	v_add_co_u32_e32 v0, vcc, s0, v141
	s_mul_i32 s0, s9, 0xfffffd28
	s_sub_i32 s1, s1, s8
	s_add_i32 s1, s1, s0
	s_mul_i32 s0, s8, 0xfffffd28
	v_addc_co_u32_e32 v1, vcc, 0, v142, vcc
	s_lshl_b64 s[18:19], s[0:1], 3
	v_mov_b32_e32 v30, s19
	v_add_co_u32_e32 v2, vcc, s18, v2
	v_addc_co_u32_e32 v3, vcc, v3, v30, vcc
	v_add_co_u32_e32 v8, vcc, s14, v2
	v_addc_co_u32_e32 v9, vcc, v3, v32, vcc
	;; [unrolled: 2-line block ×3, first 2 shown]
	global_load_dwordx2 v[131:132], v[0:1], off offset:2624
	global_load_dwordx2 v[124:125], v[0:1], off offset:3520
	global_load_dwordx2 v[12:13], v[2:3], off
	global_load_dwordx2 v[14:15], v[8:9], off
	global_load_dwordx2 v[16:17], v[10:11], off
	global_load_dwordx2 v[129:130], v143, s[16:17] offset:896
	global_load_dwordx2 v[122:123], v143, s[16:17] offset:1792
	v_add_co_u32_e32 v2, vcc, s14, v10
	v_addc_co_u32_e32 v3, vcc, v11, v32, vcc
	s_movk_i32 s0, 0x2000
	v_add_co_u32_e32 v10, vcc, s0, v141
	v_addc_co_u32_e32 v11, vcc, 0, v142, vcc
	global_load_dwordx2 v[8:9], v[2:3], off
	v_add_co_u32_e32 v2, vcc, s18, v2
	v_addc_co_u32_e32 v3, vcc, v3, v30, vcc
	global_load_dwordx2 v[120:121], v[10:11], off offset:320
	global_load_dwordx2 v[18:19], v[2:3], off
	global_load_dwordx2 v[118:119], v143, s[16:17] offset:2688
	v_add_co_u32_e32 v2, vcc, s14, v2
	v_addc_co_u32_e32 v3, vcc, v3, v32, vcc
	global_load_dwordx2 v[20:21], v[2:3], off
	global_load_dwordx2 v[116:117], v[10:11], off offset:1216
	v_add_co_u32_e32 v2, vcc, s18, v2
	v_addc_co_u32_e32 v3, vcc, v3, v30, vcc
	global_load_dwordx2 v[22:23], v[2:3], off
	global_load_dwordx2 v[114:115], v143, s[16:17] offset:3584
	v_add_co_u32_e32 v2, vcc, s14, v2
	v_addc_co_u32_e32 v3, vcc, v3, v32, vcc
	global_load_dwordx2 v[24:25], v[2:3], off
	global_load_dwordx2 v[112:113], v[10:11], off offset:2112
	v_add_co_u32_e32 v2, vcc, s18, v2
	v_addc_co_u32_e32 v3, vcc, v3, v30, vcc
	global_load_dwordx2 v[26:27], v[2:3], off
	global_load_dwordx2 v[110:111], v[0:1], off offset:384
	;; [unrolled: 4-line block ×5, first 2 shown]
	s_load_dwordx2 s[12:13], s[4:5], 0x38
	s_load_dwordx4 s[8:11], s[2:3], 0x0
	v_cmp_gt_u16_e64 s[0:1], 56, v144
	s_waitcnt vmcnt(26)
	v_mul_f32_e32 v10, v5, v128
	v_fmac_f32_e32 v10, v4, v127
	v_mul_f32_e32 v4, v4, v128
	v_fma_f32 v11, v5, v127, -v4
	s_waitcnt vmcnt(24)
	v_mul_f32_e32 v4, v7, v132
	v_mul_f32_e32 v5, v6, v132
	v_fmac_f32_e32 v4, v6, v131
	v_fma_f32 v5, v7, v131, -v5
	ds_write_b64 v143, v[4:5] offset:6720
	s_waitcnt vmcnt(19)
	v_mul_f32_e32 v4, v13, v130
	v_mul_f32_e32 v5, v12, v130
	v_fmac_f32_e32 v4, v12, v129
	v_fma_f32 v5, v13, v129, -v5
	ds_write2_b64 v143, v[10:11], v[4:5] offset1:112
	v_mul_f32_e32 v4, v15, v125
	v_mul_f32_e32 v5, v14, v125
	v_fmac_f32_e32 v4, v14, v124
	v_fma_f32 v5, v15, v124, -v5
	s_waitcnt vmcnt(18)
	v_mul_f32_e32 v6, v17, v123
	v_mul_f32_e32 v7, v16, v123
	v_fmac_f32_e32 v6, v16, v122
	s_waitcnt vmcnt(16)
	v_mul_f32_e32 v10, v9, v121
	v_fmac_f32_e32 v10, v8, v120
	v_mul_f32_e32 v8, v8, v121
	v_fma_f32 v11, v9, v120, -v8
	v_add_u32_e32 v8, 0x1c00, v143
	ds_write2_b64 v8, v[4:5], v[10:11] offset0:56 offset1:168
	s_waitcnt vmcnt(14)
	v_mul_f32_e32 v4, v19, v119
	v_mul_f32_e32 v5, v18, v119
	v_fma_f32 v7, v17, v122, -v7
	v_fmac_f32_e32 v4, v18, v118
	v_fma_f32 v5, v19, v118, -v5
	v_add_u32_e32 v9, 0x400, v143
	ds_write2_b64 v9, v[6:7], v[4:5] offset0:96 offset1:208
	s_waitcnt vmcnt(12)
	v_mul_f32_e32 v4, v21, v117
	v_mul_f32_e32 v5, v20, v117
	v_fmac_f32_e32 v4, v20, v116
	s_waitcnt vmcnt(8)
	v_mul_f32_e32 v11, v25, v113
	v_mul_f32_e32 v10, v24, v113
	v_fma_f32 v5, v21, v116, -v5
	v_fmac_f32_e32 v11, v24, v112
	v_fma_f32 v12, v25, v112, -v10
	v_add_u32_e32 v10, 0x2400, v143
	v_mul_f32_e32 v6, v23, v115
	v_mul_f32_e32 v7, v22, v115
	ds_write2_b64 v10, v[4:5], v[11:12] offset0:24 offset1:136
	s_waitcnt vmcnt(6)
	v_mul_f32_e32 v4, v27, v111
	v_mul_f32_e32 v5, v26, v111
	v_fmac_f32_e32 v6, v22, v114
	v_fma_f32 v7, v23, v114, -v7
	v_fmac_f32_e32 v4, v26, v110
	v_fma_f32 v5, v27, v110, -v5
	v_add_u32_e32 v11, 0xc00, v143
	ds_write2_b64 v11, v[6:7], v[4:5] offset0:64 offset1:176
	s_waitcnt vmcnt(2)
	v_mul_f32_e32 v6, v31, v107
	v_mul_f32_e32 v7, v30, v107
	v_fmac_f32_e32 v6, v30, v106
	v_fma_f32 v7, v31, v106, -v7
	ds_write_b64 v143, v[6:7] offset:5376
	s_waitcnt vmcnt(0)
	v_mul_f32_e32 v6, v3, v105
	v_mul_f32_e32 v4, v29, v109
	;; [unrolled: 1-line block ×3, first 2 shown]
	v_fmac_f32_e32 v6, v2, v104
	v_mul_f32_e32 v2, v2, v105
	v_fmac_f32_e32 v4, v28, v108
	v_fma_f32 v5, v29, v108, -v5
	v_fma_f32 v7, v3, v104, -v2
	v_add_u32_e32 v12, 0x2800, v143
	ds_write2_b64 v12, v[4:5], v[6:7] offset0:120 offset1:232
	s_and_saveexec_b64 s[2:3], s[0:1]
	s_cbranch_execz .LBB0_3
; %bb.2:
	v_mov_b32_e32 v2, s19
	v_add_co_u32_e32 v0, vcc, s18, v0
	v_addc_co_u32_e32 v1, vcc, v1, v2, vcc
	v_add_co_u32_e32 v4, vcc, 0x1000, v141
	v_addc_co_u32_e32 v5, vcc, 0, v142, vcc
	global_load_dwordx2 v[2:3], v[0:1], off
	v_mov_b32_e32 v6, s15
	v_add_co_u32_e32 v0, vcc, s14, v0
	v_addc_co_u32_e32 v1, vcc, v1, v6, vcc
	v_add_co_u32_e32 v6, vcc, 0x3000, v141
	global_load_dwordx2 v[4:5], v[4:5], off offset:2176
	v_addc_co_u32_e32 v7, vcc, 0, v142, vcc
	global_load_dwordx2 v[6:7], v[6:7], off offset:704
	s_waitcnt vmcnt(1)
	v_mul_f32_e32 v13, v3, v5
	global_load_dwordx2 v[0:1], v[0:1], off
	v_mul_f32_e32 v5, v2, v5
	v_fmac_f32_e32 v13, v2, v4
	v_fma_f32 v14, v3, v4, -v5
	ds_write_b64 v143, v[13:14] offset:6272
	s_waitcnt vmcnt(0)
	v_mul_f32_e32 v2, v1, v7
	v_mul_f32_e32 v3, v0, v7
	v_fmac_f32_e32 v2, v0, v6
	v_fma_f32 v3, v1, v6, -v3
	ds_write_b64 v143, v[2:3] offset:12992
.LBB0_3:
	s_or_b64 exec, exec, s[2:3]
	v_add_u32_e32 v0, 0x1400, v143
	s_waitcnt lgkmcnt(0)
	s_barrier
	ds_read2_b64 v[4:7], v143 offset1:112
	ds_read2_b64 v[0:3], v0 offset0:32 offset1:200
	ds_read2_b64 v[24:27], v8 offset0:56 offset1:168
	ds_read2_b64 v[16:19], v9 offset0:96 offset1:208
	ds_read2_b64 v[20:23], v10 offset0:24 offset1:136
	ds_read2_b64 v[8:11], v11 offset0:64 offset1:176
	ds_read2_b64 v[12:15], v12 offset0:120 offset1:232
                                        ; implicit-def: $vgpr30
                                        ; implicit-def: $vgpr28
	s_and_saveexec_b64 s[2:3], s[0:1]
	s_cbranch_execz .LBB0_5
; %bb.4:
	ds_read_b64 v[28:29], v143 offset:6272
	ds_read_b64 v[30:31], v143 offset:12992
.LBB0_5:
	s_or_b64 exec, exec, s[2:3]
	s_load_dwordx2 s[4:5], s[4:5], 0x8
	s_movk_i32 s2, 0x150
	v_add_co_u32_e32 v33, vcc, s2, v144
	s_movk_i32 s2, 0x1c0
	s_waitcnt lgkmcnt(0)
	v_sub_f32_e32 v42, v6, v24
	v_sub_f32_e32 v43, v7, v25
	v_add_co_u32_e32 v83, vcc, 0x70, v144
	v_add_co_u32_e32 v82, vcc, 0xe0, v144
	;; [unrolled: 1-line block ×3, first 2 shown]
	s_movk_i32 s2, 0x310
	v_sub_f32_e32 v37, v4, v2
	v_sub_f32_e32 v38, v5, v3
	v_fma_f32 v40, v6, 2.0, -v42
	v_fma_f32 v41, v7, 2.0, -v43
	v_sub_f32_e32 v6, v16, v26
	v_sub_f32_e32 v7, v17, v27
	v_lshlrev_b32_e32 v34, 1, v144
	v_add_co_u32_e32 v39, vcc, s2, v144
	v_fma_f32 v35, v4, 2.0, -v37
	v_fma_f32 v36, v5, 2.0, -v38
	;; [unrolled: 1-line block ×4, first 2 shown]
	v_sub_f32_e32 v20, v18, v20
	v_sub_f32_e32 v21, v19, v21
	;; [unrolled: 1-line block ×10, first 2 shown]
	v_lshlrev_b32_e32 v147, 4, v144
	v_lshlrev_b32_e32 v148, 4, v83
	;; [unrolled: 1-line block ×3, first 2 shown]
	v_fma_f32 v18, v18, 2.0, -v20
	v_fma_f32 v19, v19, 2.0, -v21
	;; [unrolled: 1-line block ×10, first 2 shown]
	s_barrier
	ds_write_b128 v147, v[35:38]
	v_lshlrev_b32_e32 v35, 1, v83
	ds_write_b128 v148, v[40:43]
	v_lshlrev_b32_e32 v36, 1, v82
	ds_write_b128 v150, v[4:7]
	v_lshlrev_b32_e32 v37, 1, v33
	v_lshlrev_b32_e32 v151, 4, v33
	v_lshlrev_b32_e32 v38, 1, v32
	v_lshlrev_b32_e32 v153, 4, v32
	v_add_u32_e32 v158, 0x460, v34
	v_lshlrev_b32_e32 v4, 3, v34
	v_add_u32_e32 v161, 0x540, v34
	v_lshlrev_b32_e32 v152, 4, v39
	ds_write_b128 v151, v[18:21]
	ds_write_b128 v153, v[22:25]
	ds_write_b128 v4, v[10:13] offset:8960
	ds_write_b128 v4, v[14:17] offset:10752
	s_and_saveexec_b64 s[2:3], s[0:1]
	s_cbranch_execz .LBB0_7
; %bb.6:
	ds_write_b128 v152, v[0:3]
.LBB0_7:
	s_or_b64 exec, exec, s[2:3]
	v_add_u32_e32 v12, 0x1c00, v143
	v_add_u32_e32 v16, 0x2400, v143
	s_waitcnt lgkmcnt(0)
	s_barrier
	v_add_u32_e32 v4, 0x1400, v143
	ds_read2_b64 v[20:23], v12 offset0:56 offset1:168
	v_add_u32_e32 v12, 0x400, v143
	ds_read2_b64 v[24:27], v16 offset0:24 offset1:136
	v_add_u32_e32 v16, 0xc00, v143
	v_add_u32_e32 v28, 0x2800, v143
	ds_read2_b64 v[8:11], v143 offset1:112
	ds_read2_b64 v[4:7], v4 offset0:32 offset1:200
	ds_read2_b64 v[12:15], v12 offset0:96 offset1:208
	;; [unrolled: 1-line block ×4, first 2 shown]
	s_and_saveexec_b64 s[2:3], s[0:1]
	s_cbranch_execz .LBB0_9
; %bb.8:
	ds_read_b64 v[0:1], v143 offset:6272
	ds_read_b64 v[2:3], v143 offset:12992
.LBB0_9:
	s_or_b64 exec, exec, s[2:3]
	v_and_b32_e32 v146, 1, v144
	v_lshlrev_b32_e32 v40, 3, v146
	global_load_dwordx2 v[133:134], v40, s[4:5]
	s_movk_i32 s3, 0x1fc
	s_movk_i32 s14, 0x3fc
	;; [unrolled: 1-line block ×3, first 2 shown]
	v_and_or_b32 v41, v35, s3, v146
	v_and_or_b32 v42, v36, s14, v146
	;; [unrolled: 1-line block ×4, first 2 shown]
	v_lshlrev_b32_e32 v156, 3, v41
	v_lshlrev_b32_e32 v155, 3, v42
	;; [unrolled: 1-line block ×4, first 2 shown]
	s_movk_i32 s2, 0x5fc
	s_movk_i32 s15, 0x7fc
	v_and_or_b32 v44, v38, s15, v146
	v_lshlrev_b32_e32 v160, 3, v44
	v_lshlrev_b32_e32 v145, 1, v39
	s_waitcnt vmcnt(0) lgkmcnt(0)
	s_barrier
	v_mul_f32_e32 v52, v28, v134
	v_mul_f32_e32 v55, v3, v134
	;; [unrolled: 1-line block ×9, first 2 shown]
	v_fmac_f32_e32 v52, v29, v133
	v_fma_f32 v29, v2, v133, -v55
	v_mul_f32_e32 v40, v7, v134
	v_mul_f32_e32 v43, v20, v134
	;; [unrolled: 1-line block ×7, first 2 shown]
	v_fmac_f32_e32 v41, v7, v133
	v_fma_f32 v7, v20, v133, -v42
	v_fma_f32 v20, v22, v133, -v45
	;; [unrolled: 1-line block ×6, first 2 shown]
	v_sub_f32_e32 v30, v0, v29
	v_fma_f32 v6, v6, v133, -v40
	v_fmac_f32_e32 v50, v27, v133
	v_fmac_f32_e32 v54, v31, v133
	;; [unrolled: 1-line block ×3, first 2 shown]
	v_sub_f32_e32 v40, v4, v28
	v_fma_f32 v28, v0, 2.0, -v30
	v_and_or_b32 v0, v158, s2, v146
	v_fmac_f32_e32 v43, v21, v133
	v_fmac_f32_e32 v46, v23, v133
	;; [unrolled: 1-line block ×3, first 2 shown]
	v_sub_f32_e32 v2, v8, v6
	v_sub_f32_e32 v3, v9, v41
	;; [unrolled: 1-line block ×8, first 2 shown]
	v_lshlrev_b32_e32 v162, 3, v0
	v_and_or_b32 v0, v161, s15, v146
	v_sub_f32_e32 v6, v10, v7
	v_sub_f32_e32 v7, v11, v43
	;; [unrolled: 1-line block ×6, first 2 shown]
	v_fma_f32 v8, v8, 2.0, -v2
	v_fma_f32 v9, v9, 2.0, -v3
	;; [unrolled: 1-line block ×9, first 2 shown]
	v_lshlrev_b32_e32 v163, 3, v0
	v_fma_f32 v10, v10, 2.0, -v6
	v_fma_f32 v11, v11, 2.0, -v7
	;; [unrolled: 1-line block ×6, first 2 shown]
	ds_write2_b64 v157, v[8:9], v[2:3] offset1:2
	ds_write2_b64 v156, v[10:11], v[6:7] offset1:2
	;; [unrolled: 1-line block ×7, first 2 shown]
	s_and_saveexec_b64 s[2:3], s[0:1]
	s_cbranch_execz .LBB0_11
; %bb.10:
	s_movk_i32 s14, 0x6fc
	v_and_or_b32 v0, v145, s14, v146
	v_lshlrev_b32_e32 v0, 3, v0
	ds_write2_b64 v0, v[28:29], v[30:31] offset1:2
.LBB0_11:
	s_or_b64 exec, exec, s[2:3]
	v_add_u32_e32 v8, 0x1c00, v143
	v_add_u32_e32 v12, 0x2400, v143
	s_waitcnt lgkmcnt(0)
	s_barrier
	v_add_u32_e32 v0, 0x1400, v143
	ds_read2_b64 v[16:19], v8 offset0:56 offset1:168
	v_add_u32_e32 v8, 0x400, v143
	ds_read2_b64 v[20:23], v12 offset0:24 offset1:136
	v_add_u32_e32 v12, 0xc00, v143
	v_add_u32_e32 v24, 0x2800, v143
	ds_read2_b64 v[4:7], v143 offset1:112
	ds_read2_b64 v[0:3], v0 offset0:32 offset1:200
	ds_read2_b64 v[8:11], v8 offset0:96 offset1:208
	;; [unrolled: 1-line block ×4, first 2 shown]
	s_and_saveexec_b64 s[2:3], s[0:1]
	s_cbranch_execz .LBB0_13
; %bb.12:
	ds_read_b64 v[28:29], v143 offset:6272
	ds_read_b64 v[30:31], v143 offset:12992
.LBB0_13:
	s_or_b64 exec, exec, s[2:3]
	v_and_b32_e32 v149, 3, v144
	v_lshlrev_b32_e32 v39, 3, v149
	global_load_dwordx2 v[135:136], v39, s[4:5] offset:16
	s_movk_i32 s2, 0xf8
	s_movk_i32 s3, 0x1f8
	s_movk_i32 s14, 0x3f8
	v_and_or_b32 v39, v34, s2, v149
	v_and_or_b32 v40, v35, s3, v149
	;; [unrolled: 1-line block ×4, first 2 shown]
	v_lshlrev_b32_e32 v167, 3, v39
	v_lshlrev_b32_e32 v166, 3, v40
	;; [unrolled: 1-line block ×4, first 2 shown]
	s_movk_i32 s2, 0x5f8
	s_movk_i32 s15, 0x7f8
	s_waitcnt vmcnt(0) lgkmcnt(0)
	s_barrier
	v_and_or_b32 v43, v38, s15, v149
	v_lshlrev_b32_e32 v168, 3, v43
	v_mul_f32_e32 v39, v3, v136
	v_mul_f32_e32 v40, v2, v136
	v_mul_f32_e32 v41, v17, v136
	v_mul_f32_e32 v42, v16, v136
	v_mul_f32_e32 v44, v19, v136
	v_mul_f32_e32 v45, v18, v136
	v_mul_f32_e32 v46, v21, v136
	v_mul_f32_e32 v47, v20, v136
	v_fma_f32 v2, v2, v135, -v39
	v_fmac_f32_e32 v40, v3, v135
	v_fma_f32 v16, v16, v135, -v41
	v_fmac_f32_e32 v42, v17, v135
	;; [unrolled: 2-line block ×4, first 2 shown]
	v_sub_f32_e32 v2, v4, v2
	v_sub_f32_e32 v3, v5, v40
	v_mul_f32_e32 v48, v23, v136
	v_mul_f32_e32 v49, v22, v136
	;; [unrolled: 1-line block ×8, first 2 shown]
	v_sub_f32_e32 v16, v6, v16
	v_sub_f32_e32 v17, v7, v42
	;; [unrolled: 1-line block ×6, first 2 shown]
	v_fma_f32 v4, v4, 2.0, -v2
	v_fma_f32 v5, v5, 2.0, -v3
	v_fma_f32 v22, v22, v135, -v48
	v_fmac_f32_e32 v49, v23, v135
	v_fma_f32 v24, v24, v135, -v50
	v_fmac_f32_e32 v51, v25, v135
	;; [unrolled: 2-line block ×4, first 2 shown]
	v_fma_f32 v6, v6, 2.0, -v16
	v_fma_f32 v7, v7, 2.0, -v17
	;; [unrolled: 1-line block ×6, first 2 shown]
	ds_write2_b64 v167, v[4:5], v[2:3] offset1:4
	ds_write2_b64 v166, v[6:7], v[16:17] offset1:4
	;; [unrolled: 1-line block ×4, first 2 shown]
	v_and_or_b32 v2, v158, s2, v149
	v_sub_f32_e32 v22, v12, v22
	v_sub_f32_e32 v23, v13, v49
	;; [unrolled: 1-line block ×8, first 2 shown]
	v_lshlrev_b32_e32 v169, 3, v2
	v_and_or_b32 v2, v161, s15, v149
	v_fma_f32 v12, v12, 2.0, -v22
	v_fma_f32 v13, v13, 2.0, -v23
	;; [unrolled: 1-line block ×8, first 2 shown]
	v_lshlrev_b32_e32 v170, 3, v2
	ds_write2_b64 v168, v[12:13], v[22:23] offset1:4
	ds_write2_b64 v169, v[14:15], v[24:25] offset1:4
	;; [unrolled: 1-line block ×3, first 2 shown]
	s_and_saveexec_b64 s[2:3], s[0:1]
	s_cbranch_execz .LBB0_15
; %bb.14:
	s_movk_i32 s14, 0x6f8
	v_and_or_b32 v0, v145, s14, v149
	v_lshlrev_b32_e32 v0, 3, v0
	ds_write2_b64 v0, v[28:29], v[30:31] offset1:4
.LBB0_15:
	s_or_b64 exec, exec, s[2:3]
	v_add_u32_e32 v8, 0x1c00, v143
	v_add_u32_e32 v12, 0x2400, v143
	s_waitcnt lgkmcnt(0)
	s_barrier
	v_add_u32_e32 v0, 0x1400, v143
	ds_read2_b64 v[16:19], v8 offset0:56 offset1:168
	v_add_u32_e32 v8, 0x400, v143
	ds_read2_b64 v[20:23], v12 offset0:24 offset1:136
	v_add_u32_e32 v12, 0xc00, v143
	v_add_u32_e32 v24, 0x2800, v143
	ds_read2_b64 v[4:7], v143 offset1:112
	ds_read2_b64 v[0:3], v0 offset0:32 offset1:200
	ds_read2_b64 v[8:11], v8 offset0:96 offset1:208
	ds_read2_b64 v[12:15], v12 offset0:64 offset1:176
	ds_read2_b64 v[24:27], v24 offset0:120 offset1:232
	s_and_saveexec_b64 s[2:3], s[0:1]
	s_cbranch_execz .LBB0_17
; %bb.16:
	ds_read_b64 v[28:29], v143 offset:6272
	ds_read_b64 v[30:31], v143 offset:12992
.LBB0_17:
	s_or_b64 exec, exec, s[2:3]
	v_and_b32_e32 v159, 7, v144
	v_lshlrev_b32_e32 v39, 3, v159
	global_load_dwordx2 v[137:138], v39, s[4:5] offset:48
	s_movk_i32 s2, 0xf0
	s_movk_i32 s3, 0x1f0
	;; [unrolled: 1-line block ×4, first 2 shown]
	v_and_or_b32 v34, v34, s2, v159
	v_and_or_b32 v35, v35, s3, v159
	;; [unrolled: 1-line block ×5, first 2 shown]
	v_lshlrev_b32_e32 v175, 3, v34
	v_lshlrev_b32_e32 v174, 3, v35
	;; [unrolled: 1-line block ×5, first 2 shown]
	s_movk_i32 s2, 0x5f0
	s_waitcnt vmcnt(0) lgkmcnt(0)
	s_barrier
	v_mul_f32_e32 v34, v3, v138
	v_mul_f32_e32 v35, v2, v138
	;; [unrolled: 1-line block ×10, first 2 shown]
	v_fma_f32 v2, v2, v137, -v34
	v_fmac_f32_e32 v35, v3, v137
	v_fma_f32 v16, v16, v137, -v36
	v_fmac_f32_e32 v37, v17, v137
	;; [unrolled: 2-line block ×5, first 2 shown]
	v_sub_f32_e32 v2, v4, v2
	v_sub_f32_e32 v3, v5, v35
	v_mul_f32_e32 v44, v25, v138
	v_mul_f32_e32 v45, v24, v138
	;; [unrolled: 1-line block ×4, first 2 shown]
	v_sub_f32_e32 v16, v6, v16
	v_sub_f32_e32 v17, v7, v37
	;; [unrolled: 1-line block ×8, first 2 shown]
	v_fma_f32 v4, v4, 2.0, -v2
	v_fma_f32 v5, v5, 2.0, -v3
	v_mul_f32_e32 v48, v31, v138
	v_mul_f32_e32 v49, v30, v138
	v_fma_f32 v24, v24, v137, -v44
	v_fmac_f32_e32 v45, v25, v137
	v_fma_f32 v26, v26, v137, -v46
	v_fmac_f32_e32 v47, v27, v137
	v_fma_f32 v6, v6, 2.0, -v16
	v_fma_f32 v7, v7, 2.0, -v17
	;; [unrolled: 1-line block ×8, first 2 shown]
	ds_write2_b64 v175, v[4:5], v[2:3] offset1:8
	ds_write2_b64 v174, v[6:7], v[16:17] offset1:8
	;; [unrolled: 1-line block ×5, first 2 shown]
	v_and_or_b32 v2, v158, s2, v159
	v_fma_f32 v30, v30, v137, -v48
	v_fmac_f32_e32 v49, v31, v137
	v_sub_f32_e32 v24, v14, v24
	v_sub_f32_e32 v25, v15, v45
	;; [unrolled: 1-line block ×4, first 2 shown]
	v_lshlrev_b32_e32 v176, 3, v2
	v_and_or_b32 v2, v161, s15, v159
	v_sub_f32_e32 v44, v28, v30
	v_sub_f32_e32 v45, v29, v49
	v_fma_f32 v14, v14, 2.0, -v24
	v_fma_f32 v15, v15, 2.0, -v25
	;; [unrolled: 1-line block ×4, first 2 shown]
	v_lshlrev_b32_e32 v177, 3, v2
	ds_write2_b64 v176, v[14:15], v[24:25] offset1:8
	ds_write2_b64 v177, v[0:1], v[26:27] offset1:8
	s_and_saveexec_b64 s[2:3], s[0:1]
	s_cbranch_execz .LBB0_19
; %bb.18:
	s_movk_i32 s14, 0x6f0
	v_and_or_b32 v2, v145, s14, v159
	v_fma_f32 v1, v29, 2.0, -v45
	v_fma_f32 v0, v28, 2.0, -v44
	v_lshlrev_b32_e32 v2, 3, v2
	ds_write2_b64 v2, v[0:1], v[44:45] offset1:8
.LBB0_19:
	s_or_b64 exec, exec, s[2:3]
	v_add_u32_e32 v12, 0x2800, v143
	s_waitcnt lgkmcnt(0)
	s_barrier
	v_add_u32_e32 v34, 0xc00, v143
	v_add_u32_e32 v4, 0x2000, v143
	;; [unrolled: 1-line block ×4, first 2 shown]
	ds_read2_b64 v[20:23], v12 offset0:64 offset1:176
	v_add_u32_e32 v12, 0x1800, v143
	v_and_b32_e32 v41, 15, v144
	ds_read2_b64 v[0:3], v143 offset1:112
	ds_read2_b64 v[36:39], v34 offset0:64 offset1:176
	ds_read2_b64 v[4:7], v4 offset0:96 offset1:208
	;; [unrolled: 1-line block ×5, first 2 shown]
	ds_read_b64 v[28:29], v143 offset:12544
	v_lshlrev_b32_e32 v12, 4, v41
	global_load_dwordx4 v[12:15], v12, s[4:5] offset:112
	s_waitcnt vmcnt(0) lgkmcnt(0)
	s_barrier
	v_cmp_gt_u16_e64 s[2:3], 16, v144
                                        ; implicit-def: $vgpr76
                                        ; implicit-def: $vgpr80
	v_mul_f32_e32 v30, v39, v13
	v_fma_f32 v30, v38, v12, -v30
	v_mul_f32_e32 v31, v38, v13
	v_mul_f32_e32 v38, v5, v15
	v_fmac_f32_e32 v31, v39, v12
	v_fma_f32 v38, v4, v14, -v38
	v_mul_f32_e32 v39, v4, v15
	v_mul_f32_e32 v4, v9, v13
	v_fma_f32 v42, v8, v12, -v4
	v_mul_f32_e32 v4, v7, v15
	v_fma_f32 v46, v6, v14, -v4
	;; [unrolled: 2-line block ×6, first 2 shown]
	v_mul_f32_e32 v4, v27, v13
	v_fmac_f32_e32 v39, v5, v14
	v_fma_f32 v56, v26, v12, -v4
	v_mul_f32_e32 v4, v29, v15
	v_add_f32_e32 v5, v30, v38
	v_mul_f32_e32 v47, v6, v15
	v_fma_f32 v58, v28, v14, -v4
	v_add_f32_e32 v4, v0, v30
	v_fma_f32 v0, -0.5, v5, v0
	v_fmac_f32_e32 v47, v7, v14
	v_sub_f32_e32 v5, v31, v39
	v_mov_b32_e32 v6, v0
	v_add_f32_e32 v7, v31, v39
	v_mul_f32_e32 v43, v8, v13
	v_fmac_f32_e32 v6, 0x3f5db3d7, v5
	v_fmac_f32_e32 v0, 0xbf5db3d7, v5
	v_add_f32_e32 v5, v1, v31
	v_fma_f32 v1, -0.5, v7, v1
	v_fmac_f32_e32 v43, v9, v12
	v_sub_f32_e32 v8, v30, v38
	v_mov_b32_e32 v7, v1
	v_add_f32_e32 v9, v42, v46
	v_mul_f32_e32 v49, v10, v13
	v_fmac_f32_e32 v7, 0xbf5db3d7, v8
	v_fmac_f32_e32 v1, 0x3f5db3d7, v8
	v_add_f32_e32 v8, v2, v42
	v_fma_f32 v2, -0.5, v9, v2
	v_fmac_f32_e32 v49, v11, v12
	v_sub_f32_e32 v9, v43, v47
	v_mov_b32_e32 v10, v2
	v_add_f32_e32 v11, v43, v47
	v_mul_f32_e32 v51, v20, v15
	v_fmac_f32_e32 v10, 0x3f5db3d7, v9
	v_fmac_f32_e32 v2, 0xbf5db3d7, v9
	v_add_f32_e32 v9, v3, v43
	v_fmac_f32_e32 v3, -0.5, v11
	v_fmac_f32_e32 v51, v21, v14
	v_sub_f32_e32 v20, v42, v46
	v_mov_b32_e32 v11, v3
	v_add_f32_e32 v21, v48, v50
	v_mul_f32_e32 v55, v22, v15
	v_fmac_f32_e32 v11, 0xbf5db3d7, v20
	v_fmac_f32_e32 v3, 0x3f5db3d7, v20
	v_add_f32_e32 v20, v16, v48
	v_fma_f32 v16, -0.5, v21, v16
	v_fmac_f32_e32 v55, v23, v14
	v_sub_f32_e32 v21, v49, v51
	v_mov_b32_e32 v22, v16
	v_add_f32_e32 v23, v49, v51
	v_mul_f32_e32 v53, v24, v13
	v_fmac_f32_e32 v22, 0x3f5db3d7, v21
	v_fmac_f32_e32 v16, 0xbf5db3d7, v21
	v_add_f32_e32 v21, v17, v49
	v_fma_f32 v17, -0.5, v23, v17
	;; [unrolled: 9-line block ×3, first 2 shown]
	v_fmac_f32_e32 v57, v27, v12
	v_sub_f32_e32 v25, v53, v55
	v_mov_b32_e32 v26, v18
	v_add_f32_e32 v27, v53, v55
	v_mul_f32_e32 v59, v28, v15
	v_fmac_f32_e32 v26, 0x3f5db3d7, v25
	v_fmac_f32_e32 v18, 0xbf5db3d7, v25
	v_add_f32_e32 v25, v19, v53
	v_fmac_f32_e32 v19, -0.5, v27
	v_fmac_f32_e32 v59, v29, v14
	v_sub_f32_e32 v28, v52, v54
	v_mov_b32_e32 v27, v19
	v_add_f32_e32 v29, v56, v58
	v_fmac_f32_e32 v27, 0xbf5db3d7, v28
	v_fmac_f32_e32 v19, 0x3f5db3d7, v28
	v_add_f32_e32 v28, v36, v56
	v_fma_f32 v36, -0.5, v29, v36
	v_sub_f32_e32 v29, v57, v59
	v_mov_b32_e32 v30, v36
	v_add_f32_e32 v31, v57, v59
	v_fmac_f32_e32 v30, 0x3f5db3d7, v29
	v_fmac_f32_e32 v36, 0xbf5db3d7, v29
	v_add_f32_e32 v29, v37, v57
	v_fmac_f32_e32 v37, -0.5, v31
	v_add_f32_e32 v4, v4, v38
	v_sub_f32_e32 v38, v56, v58
	v_mov_b32_e32 v31, v37
	v_fmac_f32_e32 v31, 0xbf5db3d7, v38
	v_fmac_f32_e32 v37, 0x3f5db3d7, v38
	v_lshrrev_b32_e32 v38, 4, v144
	v_mul_u32_u24_e32 v38, 48, v38
	v_or_b32_e32 v38, v38, v41
	v_add_f32_e32 v5, v5, v39
	v_lshlrev_b32_e32 v178, 3, v38
	ds_write2_b64 v178, v[4:5], v[6:7] offset1:16
	ds_write_b64 v178, v[0:1] offset:256
	v_lshrrev_b32_e32 v0, 4, v83
	v_mul_u32_u24_e32 v0, 48, v0
	v_or_b32_e32 v0, v0, v41
	v_lshlrev_b32_e32 v179, 3, v0
	v_lshrrev_b32_e32 v0, 4, v82
	v_mul_u32_u24_e32 v0, 48, v0
	v_or_b32_e32 v0, v0, v41
	v_lshlrev_b32_e32 v180, 3, v0
	v_lshrrev_b32_e32 v0, 4, v33
	v_mul_u32_u24_e32 v0, 48, v0
	v_or_b32_e32 v0, v0, v41
	v_lshlrev_b32_e32 v181, 3, v0
	v_lshrrev_b32_e32 v0, 4, v32
	v_mul_u32_u24_e32 v0, 48, v0
	v_or_b32_e32 v0, v0, v41
	v_add_f32_e32 v8, v8, v46
	v_add_f32_e32 v9, v9, v47
	;; [unrolled: 1-line block ×8, first 2 shown]
	v_lshlrev_b32_e32 v182, 3, v0
	v_add_u32_e32 v0, 0x1c00, v143
	ds_write2_b64 v179, v[8:9], v[10:11] offset1:16
	ds_write_b64 v179, v[2:3] offset:256
	ds_write2_b64 v180, v[20:21], v[22:23] offset1:16
	ds_write_b64 v180, v[16:17] offset:256
	;; [unrolled: 2-line block ×4, first 2 shown]
	s_waitcnt lgkmcnt(0)
	s_barrier
	ds_read2_b64 v[46:49], v143 offset1:112
	ds_read2_b64 v[50:53], v40 offset0:112 offset1:224
	ds_read2_b64 v[54:57], v34 offset0:96 offset1:208
	;; [unrolled: 1-line block ×4, first 2 shown]
	v_add_u32_e32 v0, 0x2400, v143
	ds_read2_b64 v[66:69], v0 offset0:48 offset1:160
	v_add_u32_e32 v0, 0x2c00, v143
	ds_read2_b64 v[70:73], v0 offset0:32 offset1:144
                                        ; implicit-def: $vgpr38
	s_and_saveexec_b64 s[14:15], s[2:3]
	s_cbranch_execz .LBB0_21
; %bb.20:
	v_add_u32_e32 v0, 0x700, v143
	ds_read2_b64 v[42:45], v0 offset1:240
	v_add_u32_e32 v0, 0x1600, v143
	ds_read2_b64 v[74:77], v0 offset1:240
	v_add_u32_e32 v0, 0x2500, v143
	ds_read2_b64 v[78:81], v0 offset1:240
	ds_read_b64 v[38:39], v143 offset:13312
	s_waitcnt lgkmcnt(3)
	v_mov_b32_e32 v36, v42
	v_mov_b32_e32 v37, v43
.LBB0_21:
	s_or_b64 exec, exec, s[14:15]
	s_movk_i32 s16, 0xab
	v_mul_lo_u16_sdwa v0, v144, s16 dst_sel:DWORD dst_unused:UNUSED_PAD src0_sel:BYTE_0 src1_sel:DWORD
	v_lshrrev_b16_e32 v84, 13, v0
	s_mov_b32 s14, 0xaaab
	v_mul_lo_u16_e32 v10, 48, v84
	v_mul_u32_u24_sdwa v0, v82, s14 dst_sel:DWORD dst_unused:UNUSED_PAD src0_sel:WORD_0 src1_sel:DWORD
	v_mul_lo_u16_sdwa v16, v83, s16 dst_sel:DWORD dst_unused:UNUSED_PAD src0_sel:BYTE_0 src1_sel:DWORD
	v_lshrrev_b32_e32 v0, 21, v0
	v_sub_u16_e32 v10, v144, v10
	v_lshrrev_b16_e32 v87, 13, v16
	v_mul_lo_u16_e32 v0, 48, v0
	v_and_b32_e32 v86, 0xff, v10
	v_mul_lo_u16_e32 v16, 48, v87
	v_sub_u16_e32 v85, v82, v0
	v_mad_u64_u32 v[10:11], s[14:15], v86, 48, s[4:5]
	v_sub_u16_e32 v16, v83, v16
	v_mul_lo_u16_e32 v0, 48, v85
	v_and_b32_e32 v88, 0xff, v16
	v_mov_b32_e32 v1, s5
	v_add_co_u32_e32 v8, vcc, s4, v0
	v_mad_u64_u32 v[16:17], s[14:15], v88, 48, s[4:5]
	v_addc_co_u32_e32 v9, vcc, 0, v1, vcc
	global_load_dwordx4 v[4:7], v[8:9], off offset:384
	global_load_dwordx4 v[0:3], v[8:9], off offset:368
	;; [unrolled: 1-line block ×7, first 2 shown]
	s_nop 0
	global_load_dwordx4 v[16:19], v[16:17], off offset:400
	s_nop 0
	global_load_dwordx4 v[8:11], v[8:9], off offset:400
	s_mov_b32 s14, 0x3f5ff5aa
	s_mov_b32 s15, 0x3f3bfb3b
	;; [unrolled: 1-line block ×4, first 2 shown]
	s_waitcnt vmcnt(0) lgkmcnt(0)
	s_barrier
	v_mul_f32_e32 v99, v66, v29
	v_mul_f32_e32 v102, v53, v25
	;; [unrolled: 1-line block ×9, first 2 shown]
	v_fmac_f32_e32 v95, v59, v32
	v_fma_f32 v59, v52, v24, -v102
	v_mul_f32_e32 v52, v79, v7
	v_fma_f32 v89, v44, v0, -v89
	v_fmac_f32_e32 v90, v45, v0
	v_fma_f32 v91, v74, v2, -v91
	v_fmac_f32_e32 v92, v75, v2
	v_mul_f32_e32 v44, v51, v41
	v_mul_f32_e32 v45, v50, v41
	;; [unrolled: 1-line block ×7, first 2 shown]
	v_fmac_f32_e32 v99, v67, v28
	v_fma_f32 v67, v78, v6, -v52
	v_mul_f32_e32 v52, v81, v9
	v_mul_f32_e32 v96, v63, v35
	;; [unrolled: 1-line block ×5, first 2 shown]
	v_fma_f32 v44, v50, v40, -v44
	v_fmac_f32_e32 v45, v51, v40
	v_fma_f32 v50, v54, v42, -v74
	v_fmac_f32_e32 v75, v55, v42
	v_fma_f32 v51, v58, v32, -v94
	v_fma_f32 v55, v66, v28, -v98
	;; [unrolled: 1-line block ×3, first 2 shown]
	v_fmac_f32_e32 v188, v69, v16
	v_fma_f32 v69, v80, v8, -v52
	v_mul_f32_e32 v52, v39, v11
	v_mul_f32_e32 v139, v57, v27
	v_fma_f32 v54, v62, v34, -v96
	v_fmac_f32_e32 v97, v63, v34
	v_fmac_f32_e32 v101, v71, v30
	v_fma_f32 v63, v68, v16, -v187
	v_mul_f32_e32 v68, v78, v7
	v_fma_f32 v71, v38, v10, -v52
	v_mul_f32_e32 v78, v38, v11
	v_add_f32_e32 v38, v44, v58
	v_add_f32_e32 v52, v50, v55
	v_mul_f32_e32 v140, v56, v27
	v_mul_f32_e32 v184, v60, v21
	;; [unrolled: 1-line block ×5, first 2 shown]
	v_fmac_f32_e32 v103, v53, v24
	v_fma_f32 v62, v56, v26, -v139
	v_fmac_f32_e32 v78, v39, v10
	v_add_f32_e32 v39, v45, v101
	v_sub_f32_e32 v44, v44, v58
	v_add_f32_e32 v53, v75, v99
	v_sub_f32_e32 v50, v50, v55
	;; [unrolled: 2-line block ×3, first 2 shown]
	v_add_f32_e32 v58, v52, v38
	v_mul_f32_e32 v93, v77, v5
	v_mul_f32_e32 v183, v61, v21
	;; [unrolled: 1-line block ×3, first 2 shown]
	v_fmac_f32_e32 v140, v57, v26
	v_fmac_f32_e32 v184, v61, v20
	v_fma_f32 v61, v64, v22, -v185
	v_fma_f32 v64, v72, v18, -v189
	v_fmac_f32_e32 v190, v73, v18
	v_mul_f32_e32 v66, v76, v5
	v_sub_f32_e32 v55, v75, v99
	v_add_f32_e32 v57, v95, v97
	v_sub_f32_e32 v54, v97, v95
	v_add_f32_e32 v72, v53, v39
	v_sub_f32_e32 v73, v52, v38
	v_sub_f32_e32 v75, v38, v56
	;; [unrolled: 1-line block ×3, first 2 shown]
	v_add_f32_e32 v38, v51, v50
	v_add_f32_e32 v56, v56, v58
	v_fmac_f32_e32 v186, v65, v22
	v_fma_f32 v65, v76, v4, -v93
	v_fmac_f32_e32 v66, v77, v4
	v_sub_f32_e32 v45, v45, v101
	v_sub_f32_e32 v74, v53, v39
	;; [unrolled: 1-line block ×4, first 2 shown]
	v_add_f32_e32 v39, v54, v55
	v_sub_f32_e32 v77, v51, v50
	v_sub_f32_e32 v51, v44, v51
	;; [unrolled: 1-line block ×3, first 2 shown]
	v_add_f32_e32 v57, v57, v72
	v_add_f32_e32 v44, v38, v44
	;; [unrolled: 1-line block ×3, first 2 shown]
	v_fmac_f32_e32 v68, v79, v6
	v_mul_f32_e32 v70, v80, v9
	v_sub_f32_e32 v79, v54, v55
	v_sub_f32_e32 v54, v45, v54
	;; [unrolled: 1-line block ×3, first 2 shown]
	v_add_f32_e32 v45, v39, v45
	v_add_f32_e32 v39, v47, v57
	v_mov_b32_e32 v80, v38
	v_mul_f32_e32 v46, 0x3f4a47b2, v75
	v_mul_f32_e32 v47, 0x3f4a47b2, v76
	;; [unrolled: 1-line block ×7, first 2 shown]
	v_fmac_f32_e32 v80, 0xbf955555, v56
	v_mov_b32_e32 v56, v39
	v_mul_f32_e32 v79, 0x3f5ff5aa, v55
	v_fmac_f32_e32 v56, 0xbf955555, v57
	v_fma_f32 v57, v73, s15, -v58
	v_fma_f32 v58, v74, s15, -v72
	;; [unrolled: 1-line block ×3, first 2 shown]
	v_fmac_f32_e32 v46, 0x3d64c772, v52
	v_fma_f32 v52, v74, s16, -v47
	v_fmac_f32_e32 v47, 0x3d64c772, v53
	v_fma_f32 v53, v50, s14, -v75
	v_fma_f32 v55, v55, s14, -v76
	;; [unrolled: 1-line block ×3, first 2 shown]
	v_fmac_f32_e32 v75, 0x3eae86e6, v51
	v_fmac_f32_e32 v76, 0x3eae86e6, v54
	v_fma_f32 v54, v54, s18, -v79
	v_add_f32_e32 v77, v47, v56
	v_add_f32_e32 v57, v57, v80
	v_add_f32_e32 v58, v58, v56
	v_add_f32_e32 v56, v52, v56
	v_fmac_f32_e32 v53, 0x3ee1c552, v44
	v_fmac_f32_e32 v55, 0x3ee1c552, v45
	;; [unrolled: 1-line block ×3, first 2 shown]
	v_fma_f32 v60, v60, v20, -v183
	v_add_f32_e32 v74, v46, v80
	v_add_f32_e32 v72, v72, v80
	v_fmac_f32_e32 v75, 0x3ee1c552, v44
	v_fmac_f32_e32 v76, 0x3ee1c552, v45
	;; [unrolled: 1-line block ×3, first 2 shown]
	v_sub_f32_e32 v47, v56, v73
	v_sub_f32_e32 v50, v57, v55
	v_add_f32_e32 v51, v53, v58
	v_add_f32_e32 v52, v55, v57
	v_sub_f32_e32 v53, v58, v53
	v_add_f32_e32 v55, v73, v56
	v_add_f32_e32 v58, v59, v64
	;; [unrolled: 1-line block ×4, first 2 shown]
	v_sub_f32_e32 v45, v77, v75
	v_add_f32_e32 v46, v54, v72
	v_sub_f32_e32 v54, v72, v54
	v_sub_f32_e32 v56, v74, v76
	v_add_f32_e32 v57, v75, v77
	v_add_f32_e32 v72, v103, v190
	;; [unrolled: 1-line block ×7, first 2 shown]
	v_sub_f32_e32 v80, v73, v58
	v_sub_f32_e32 v58, v58, v75
	;; [unrolled: 1-line block ×3, first 2 shown]
	v_add_f32_e32 v75, v75, v77
	v_fmac_f32_e32 v70, v81, v8
	v_sub_f32_e32 v62, v62, v63
	v_sub_f32_e32 v63, v140, v188
	;; [unrolled: 1-line block ×7, first 2 shown]
	v_add_f32_e32 v76, v76, v79
	v_add_f32_e32 v48, v48, v75
	v_sub_f32_e32 v59, v59, v64
	v_sub_f32_e32 v64, v103, v190
	v_add_f32_e32 v94, v61, v63
	v_sub_f32_e32 v96, v61, v63
	v_add_f32_e32 v49, v49, v76
	v_mov_b32_e32 v97, v48
	v_add_f32_e32 v93, v60, v62
	v_sub_f32_e32 v95, v60, v62
	v_sub_f32_e32 v61, v64, v61
	;; [unrolled: 1-line block ×4, first 2 shown]
	v_add_f32_e32 v64, v94, v64
	v_mul_f32_e32 v58, 0x3f4a47b2, v58
	v_mul_f32_e32 v72, 0x3f4a47b2, v72
	;; [unrolled: 1-line block ×5, first 2 shown]
	v_fmac_f32_e32 v97, 0xbf955555, v75
	v_mov_b32_e32 v75, v49
	v_sub_f32_e32 v60, v59, v60
	v_add_f32_e32 v59, v93, v59
	v_mul_f32_e32 v93, 0xbf08b237, v95
	v_mul_f32_e32 v95, 0x3f5ff5aa, v62
	;; [unrolled: 1-line block ×3, first 2 shown]
	v_fmac_f32_e32 v75, 0xbf955555, v76
	v_fma_f32 v76, v80, s15, -v77
	v_fma_f32 v77, v81, s15, -v79
	;; [unrolled: 1-line block ×3, first 2 shown]
	v_fmac_f32_e32 v58, 0x3d64c772, v73
	v_fma_f32 v73, v81, s16, -v72
	v_fmac_f32_e32 v72, 0x3d64c772, v74
	v_fma_f32 v80, v63, s14, -v94
	;; [unrolled: 2-line block ×3, first 2 shown]
	v_fma_f32 v95, v61, s18, -v96
	v_add_f32_e32 v98, v72, v75
	v_add_f32_e32 v72, v76, v97
	v_fmac_f32_e32 v80, 0x3ee1c552, v64
	v_fma_f32 v74, v62, s14, -v93
	v_add_f32_e32 v76, v77, v75
	v_add_f32_e32 v75, v73, v75
	v_fmac_f32_e32 v94, 0x3ee1c552, v64
	v_fmac_f32_e32 v81, 0x3ee1c552, v59
	;; [unrolled: 1-line block ×3, first 2 shown]
	v_sub_f32_e32 v62, v72, v80
	v_add_f32_e32 v72, v80, v72
	v_add_f32_e32 v64, v89, v71
	v_add_f32_e32 v80, v91, v69
	v_add_f32_e32 v77, v79, v97
	v_sub_f32_e32 v61, v75, v81
	v_add_f32_e32 v75, v81, v75
	v_add_f32_e32 v79, v90, v78
	v_sub_f32_e32 v71, v89, v71
	v_add_f32_e32 v81, v92, v70
	v_add_f32_e32 v89, v65, v67
	v_sub_f32_e32 v65, v67, v65
	v_add_f32_e32 v67, v80, v64
	v_sub_f32_e32 v78, v90, v78
	;; [unrolled: 2-line block ×3, first 2 shown]
	v_add_f32_e32 v68, v81, v79
	v_add_f32_e32 v67, v89, v67
	;; [unrolled: 1-line block ×3, first 2 shown]
	v_fmac_f32_e32 v74, 0x3ee1c552, v59
	v_sub_f32_e32 v70, v92, v70
	v_add_f32_e32 v68, v90, v68
	v_add_f32_e32 v36, v36, v67
	v_fmac_f32_e32 v93, 0x3eae86e6, v60
	v_add_f32_e32 v58, v94, v96
	v_add_f32_e32 v63, v74, v76
	v_sub_f32_e32 v73, v76, v74
	v_sub_f32_e32 v76, v96, v94
	;; [unrolled: 1-line block ×8, first 2 shown]
	v_add_f32_e32 v94, v66, v70
	v_sub_f32_e32 v96, v66, v70
	v_sub_f32_e32 v70, v70, v78
	v_add_f32_e32 v37, v37, v68
	v_mov_b32_e32 v97, v36
	v_fmac_f32_e32 v93, 0x3ee1c552, v59
	v_sub_f32_e32 v79, v79, v90
	v_sub_f32_e32 v66, v78, v66
	v_add_f32_e32 v78, v94, v78
	v_mul_f32_e32 v64, 0x3f4a47b2, v64
	v_mul_f32_e32 v89, 0x3d64c772, v80
	;; [unrolled: 1-line block ×5, first 2 shown]
	v_fmac_f32_e32 v97, 0xbf955555, v67
	v_mov_b32_e32 v67, v37
	v_sub_f32_e32 v59, v98, v93
	v_add_f32_e32 v60, v95, v77
	v_sub_f32_e32 v74, v77, v95
	v_add_f32_e32 v77, v93, v98
	v_add_f32_e32 v93, v65, v69
	v_sub_f32_e32 v95, v65, v69
	v_sub_f32_e32 v69, v69, v71
	v_fmac_f32_e32 v67, 0xbf955555, v68
	v_fma_f32 v68, v91, s15, -v89
	v_fma_f32 v89, v92, s15, -v90
	;; [unrolled: 1-line block ×4, first 2 shown]
	v_fmac_f32_e32 v94, 0x3eae86e6, v66
	v_fma_f32 v91, v66, s18, -v96
	v_sub_f32_e32 v65, v71, v65
	v_add_f32_e32 v71, v93, v71
	v_mul_f32_e32 v79, 0x3f4a47b2, v79
	v_mul_f32_e32 v93, 0xbf08b237, v95
	v_mul_f32_e32 v95, 0x3f5ff5aa, v69
	v_fmac_f32_e32 v94, 0x3ee1c552, v78
	v_fmac_f32_e32 v70, 0x3ee1c552, v78
	v_fmac_f32_e32 v91, 0x3ee1c552, v78
	v_mul_u32_u24_e32 v78, 0x150, v84
	v_fmac_f32_e32 v64, 0x3d64c772, v80
	v_fma_f32 v80, v92, s16, -v79
	v_fmac_f32_e32 v79, 0x3d64c772, v81
	v_fma_f32 v69, v69, s14, -v93
	;; [unrolled: 2-line block ×3, first 2 shown]
	v_add_lshl_u32 v184, v78, v86, 3
	v_add_f32_e32 v92, v64, v97
	v_add_f32_e32 v79, v79, v67
	;; [unrolled: 1-line block ×6, first 2 shown]
	v_fmac_f32_e32 v93, 0x3ee1c552, v71
	v_fmac_f32_e32 v69, 0x3ee1c552, v71
	;; [unrolled: 1-line block ×3, first 2 shown]
	ds_write2_b64 v184, v[38:39], v[44:45] offset1:48
	ds_write2_b64 v184, v[46:47], v[50:51] offset0:96 offset1:144
	ds_write2_b64 v184, v[52:53], v[54:55] offset0:192 offset1:240
	ds_write_b64 v184, v[56:57] offset:2304
	v_mul_u32_u24_e32 v38, 0x150, v87
	v_add_f32_e32 v100, v94, v92
	v_sub_f32_e32 v101, v79, v93
	v_add_f32_e32 v64, v91, v90
	v_sub_f32_e32 v65, v80, v81
	v_sub_f32_e32 v66, v68, v70
	v_add_f32_e32 v67, v69, v89
	v_add_f32_e32 v68, v70, v68
	v_sub_f32_e32 v69, v89, v69
	v_sub_f32_e32 v70, v90, v91
	v_add_f32_e32 v71, v81, v80
	v_sub_f32_e32 v139, v92, v94
	v_add_f32_e32 v140, v93, v79
	v_add_lshl_u32 v185, v38, v88, 3
	v_lshlrev_b32_e32 v183, 3, v85
	ds_write2_b64 v185, v[48:49], v[58:59] offset1:48
	ds_write2_b64 v185, v[60:61], v[62:63] offset0:96 offset1:144
	ds_write2_b64 v185, v[72:73], v[74:75] offset0:192 offset1:240
	ds_write_b64 v185, v[76:77] offset:2304
	s_and_saveexec_b64 s[14:15], s[2:3]
	s_cbranch_execz .LBB0_23
; %bb.22:
	v_add_u32_e32 v38, 0x2800, v183
	ds_write2_b64 v38, v[36:37], v[100:101] offset0:64 offset1:112
	ds_write2_b64 v38, v[64:65], v[66:67] offset0:160 offset1:208
	v_add_u32_e32 v36, 0x3000, v183
	ds_write2_b64 v36, v[68:69], v[70:71] offset1:48
	ds_write_b64 v183, v[139:140] offset:13056
.LBB0_23:
	s_or_b64 exec, exec, s[14:15]
	v_lshlrev_b32_e32 v36, 5, v144
	s_waitcnt lgkmcnt(0)
	s_barrier
	global_load_dwordx4 v[52:55], v36, s[4:5] offset:2672
	s_nop 0
	global_load_dwordx4 v[36:39], v36, s[4:5] offset:2688
	v_lshlrev_b32_e32 v44, 5, v83
	v_lshlrev_b32_e32 v48, 5, v82
	global_load_dwordx4 v[56:59], v44, s[4:5] offset:2672
	s_nop 0
	global_load_dwordx4 v[44:47], v44, s[4:5] offset:2688
	s_nop 0
	global_load_dwordx4 v[60:63], v48, s[4:5] offset:2672
	s_nop 0
	global_load_dwordx4 v[48:51], v48, s[4:5] offset:2688
	v_add_u32_e32 v77, 0x400, v143
	ds_read2_b64 v[79:82], v143 offset1:112
	v_add_u32_e32 v74, 0x1400, v143
	v_add_u32_e32 v78, 0x1800, v143
	;; [unrolled: 1-line block ×5, first 2 shown]
	ds_read_b64 v[72:73], v143 offset:12544
	ds_read2_b64 v[85:88], v77 offset0:96 offset1:208
	ds_read2_b64 v[89:92], v74 offset0:32 offset1:144
	;; [unrolled: 1-line block ×6, first 2 shown]
	v_mov_b32_e32 v83, s17
	v_addc_co_u32_e64 v83, vcc, 0, v83, s[6:7]
	s_movk_i32 s4, 0x3000
	s_movk_i32 s5, 0x4000
	s_waitcnt vmcnt(5) lgkmcnt(5)
	v_mul_f32_e32 v97, v88, v53
	s_waitcnt lgkmcnt(4)
	v_mul_f32_e32 v99, v90, v55
	s_waitcnt vmcnt(4) lgkmcnt(3)
	v_mul_f32_e32 v103, v96, v37
	v_mul_f32_e32 v198, v95, v37
	s_waitcnt vmcnt(2) lgkmcnt(0)
	v_mul_f32_e32 v206, v194, v45
	s_waitcnt vmcnt(0)
	v_mul_f32_e32 v215, v73, v51
	v_mul_f32_e32 v216, v72, v51
	v_fma_f32 v97, v87, v52, -v97
	v_fma_f32 v99, v89, v54, -v99
	;; [unrolled: 1-line block ×3, first 2 shown]
	v_mul_f32_e32 v98, v87, v53
	v_mul_f32_e32 v200, v186, v39
	;; [unrolled: 1-line block ×3, first 2 shown]
	v_fmac_f32_e32 v206, v195, v44
	v_fma_f32 v195, v72, v50, -v215
	v_fmac_f32_e32 v216, v73, v50
	v_add_f32_e32 v72, v79, v97
	v_add_f32_e32 v73, v99, v95
	v_mul_f32_e32 v102, v89, v55
	v_mul_f32_e32 v199, v187, v39
	v_fmac_f32_e32 v98, v88, v52
	v_fmac_f32_e32 v200, v187, v38
	v_add_f32_e32 v87, v72, v99
	v_fma_f32 v72, -0.5, v73, v79
	v_mul_f32_e32 v203, v92, v59
	v_mul_f32_e32 v204, v91, v59
	v_fmac_f32_e32 v102, v90, v54
	v_fmac_f32_e32 v198, v96, v36
	v_fma_f32 v88, v186, v38, -v199
	v_sub_f32_e32 v90, v98, v200
	v_add_f32_e32 v73, v87, v95
	v_mov_b32_e32 v87, v72
	v_fma_f32 v187, v91, v58, -v203
	v_fmac_f32_e32 v204, v92, v58
	v_sub_f32_e32 v92, v102, v198
	v_add_f32_e32 v89, v73, v88
	v_fmac_f32_e32 v87, 0x3f737871, v90
	v_sub_f32_e32 v73, v97, v99
	v_sub_f32_e32 v91, v88, v95
	v_fmac_f32_e32 v72, 0xbf737871, v90
	v_fmac_f32_e32 v87, 0x3f167918, v92
	v_add_f32_e32 v73, v73, v91
	v_fmac_f32_e32 v72, 0xbf167918, v92
	v_fmac_f32_e32 v87, 0x3e9e377a, v73
	;; [unrolled: 1-line block ×3, first 2 shown]
	v_add_f32_e32 v73, v97, v88
	v_fma_f32 v79, -0.5, v73, v79
	v_mul_f32_e32 v210, v192, v61
	v_mul_f32_e32 v211, v94, v63
	v_mov_b32_e32 v91, v79
	v_mul_f32_e32 v209, v193, v61
	v_mul_f32_e32 v212, v93, v63
	v_fmac_f32_e32 v210, v193, v60
	v_fma_f32 v193, v93, v62, -v211
	v_fmac_f32_e32 v91, 0xbf737871, v92
	v_sub_f32_e32 v73, v99, v97
	v_sub_f32_e32 v93, v95, v88
	v_fmac_f32_e32 v79, 0x3f737871, v92
	v_fmac_f32_e32 v91, 0x3f167918, v90
	v_add_f32_e32 v73, v73, v93
	v_fmac_f32_e32 v79, 0xbf167918, v90
	v_fmac_f32_e32 v91, 0x3e9e377a, v73
	;; [unrolled: 1-line block ×3, first 2 shown]
	v_add_f32_e32 v73, v80, v98
	v_add_f32_e32 v73, v73, v102
	;; [unrolled: 1-line block ×5, first 2 shown]
	v_fma_f32 v73, -0.5, v73, v80
	v_sub_f32_e32 v93, v97, v88
	v_mov_b32_e32 v88, v73
	v_fmac_f32_e32 v212, v94, v62
	v_fmac_f32_e32 v88, 0xbf737871, v93
	v_sub_f32_e32 v94, v99, v95
	v_sub_f32_e32 v92, v98, v102
	;; [unrolled: 1-line block ×3, first 2 shown]
	v_fmac_f32_e32 v73, 0x3f737871, v93
	v_fmac_f32_e32 v88, 0xbf167918, v94
	v_add_f32_e32 v92, v92, v95
	v_fmac_f32_e32 v73, 0x3f167918, v94
	v_fmac_f32_e32 v88, 0x3e9e377a, v92
	;; [unrolled: 1-line block ×3, first 2 shown]
	v_add_f32_e32 v92, v98, v200
	v_fma_f32 v80, -0.5, v92, v80
	v_mul_f32_e32 v201, v191, v57
	v_mov_b32_e32 v92, v80
	v_mul_f32_e32 v202, v190, v57
	v_fma_f32 v103, v190, v56, -v201
	v_fma_f32 v190, v194, v44, -v205
	v_fmac_f32_e32 v92, 0x3f737871, v94
	v_sub_f32_e32 v95, v102, v98
	v_sub_f32_e32 v96, v198, v200
	v_fmac_f32_e32 v80, 0xbf737871, v94
	v_mul_f32_e32 v208, v188, v47
	v_fmac_f32_e32 v92, 0xbf167918, v93
	v_add_f32_e32 v95, v95, v96
	v_fmac_f32_e32 v80, 0x3f167918, v93
	v_add_f32_e32 v94, v187, v190
	v_mul_f32_e32 v207, v189, v47
	v_fmac_f32_e32 v202, v191, v56
	v_fmac_f32_e32 v208, v189, v46
	;; [unrolled: 1-line block ×4, first 2 shown]
	v_fma_f32 v95, -0.5, v94, v81
	v_fma_f32 v188, v188, v46, -v207
	v_sub_f32_e32 v94, v202, v208
	v_mov_b32_e32 v97, v95
	v_fmac_f32_e32 v97, 0x3f737871, v94
	v_sub_f32_e32 v96, v204, v206
	v_sub_f32_e32 v98, v103, v187
	;; [unrolled: 1-line block ×3, first 2 shown]
	v_fmac_f32_e32 v95, 0xbf737871, v94
	v_fmac_f32_e32 v97, 0x3f167918, v96
	v_add_f32_e32 v98, v98, v99
	v_fmac_f32_e32 v95, 0xbf167918, v96
	v_fmac_f32_e32 v97, 0x3e9e377a, v98
	;; [unrolled: 1-line block ×3, first 2 shown]
	v_add_f32_e32 v98, v103, v188
	v_add_f32_e32 v93, v81, v103
	v_fma_f32 v81, -0.5, v98, v81
	v_mov_b32_e32 v186, v81
	v_fmac_f32_e32 v186, 0xbf737871, v96
	v_sub_f32_e32 v98, v187, v103
	v_sub_f32_e32 v99, v190, v188
	v_fmac_f32_e32 v81, 0x3f737871, v96
	v_add_f32_e32 v96, v204, v206
	v_fmac_f32_e32 v186, 0x3f167918, v94
	v_add_f32_e32 v98, v98, v99
	v_fmac_f32_e32 v81, 0xbf167918, v94
	v_fma_f32 v96, -0.5, v96, v82
	v_fmac_f32_e32 v186, 0x3e9e377a, v98
	v_fmac_f32_e32 v81, 0x3e9e377a, v98
	v_sub_f32_e32 v99, v103, v188
	v_mov_b32_e32 v98, v96
	v_add_f32_e32 v93, v93, v187
	v_fmac_f32_e32 v98, 0xbf737871, v99
	v_sub_f32_e32 v102, v187, v190
	v_sub_f32_e32 v103, v202, v204
	;; [unrolled: 1-line block ×3, first 2 shown]
	v_fmac_f32_e32 v96, 0x3f737871, v99
	v_fmac_f32_e32 v98, 0xbf167918, v102
	v_add_f32_e32 v103, v103, v187
	v_fmac_f32_e32 v96, 0x3f167918, v102
	v_fmac_f32_e32 v98, 0x3e9e377a, v103
	;; [unrolled: 1-line block ×3, first 2 shown]
	v_add_f32_e32 v103, v202, v208
	v_add_f32_e32 v94, v82, v202
	v_fmac_f32_e32 v82, -0.5, v103
	v_mov_b32_e32 v187, v82
	v_fma_f32 v191, v192, v60, -v209
	v_fmac_f32_e32 v187, 0x3f737871, v102
	v_fmac_f32_e32 v82, 0xbf737871, v102
	v_mul_f32_e32 v213, v197, v49
	v_fmac_f32_e32 v187, 0xbf167918, v99
	v_fmac_f32_e32 v82, 0x3f167918, v99
	v_add_f32_e32 v99, v85, v191
	v_fma_f32 v194, v196, v48, -v213
	v_add_f32_e32 v93, v93, v190
	v_add_f32_e32 v99, v99, v193
	;; [unrolled: 1-line block ×3, first 2 shown]
	v_sub_f32_e32 v103, v204, v202
	v_sub_f32_e32 v188, v206, v208
	v_add_f32_e32 v99, v99, v194
	v_add_f32_e32 v103, v103, v188
	;; [unrolled: 1-line block ×4, first 2 shown]
	v_mul_f32_e32 v214, v196, v49
	v_fma_f32 v102, -0.5, v99, v85
	v_fmac_f32_e32 v214, v197, v48
	v_sub_f32_e32 v99, v210, v216
	v_mov_b32_e32 v190, v102
	v_fmac_f32_e32 v187, 0x3e9e377a, v103
	v_fmac_f32_e32 v82, 0x3e9e377a, v103
	;; [unrolled: 1-line block ×3, first 2 shown]
	v_sub_f32_e32 v103, v212, v214
	v_sub_f32_e32 v189, v191, v193
	;; [unrolled: 1-line block ×3, first 2 shown]
	v_fmac_f32_e32 v102, 0xbf737871, v99
	v_fmac_f32_e32 v190, 0x3f167918, v103
	v_add_f32_e32 v189, v189, v192
	v_fmac_f32_e32 v102, 0xbf167918, v103
	v_fmac_f32_e32 v190, 0x3e9e377a, v189
	;; [unrolled: 1-line block ×3, first 2 shown]
	v_add_f32_e32 v189, v191, v195
	v_fma_f32 v85, -0.5, v189, v85
	v_mov_b32_e32 v192, v85
	v_fmac_f32_e32 v192, 0xbf737871, v103
	v_fmac_f32_e32 v85, 0x3f737871, v103
	;; [unrolled: 1-line block ×4, first 2 shown]
	v_add_f32_e32 v99, v86, v210
	v_sub_f32_e32 v189, v193, v191
	v_sub_f32_e32 v196, v194, v195
	v_add_f32_e32 v99, v99, v212
	v_add_f32_e32 v189, v189, v196
	;; [unrolled: 1-line block ×3, first 2 shown]
	v_fmac_f32_e32 v192, 0x3e9e377a, v189
	v_fmac_f32_e32 v85, 0x3e9e377a, v189
	v_add_f32_e32 v189, v99, v216
	v_add_f32_e32 v99, v212, v214
	v_fma_f32 v103, -0.5, v99, v86
	v_sub_f32_e32 v99, v191, v195
	v_mov_b32_e32 v191, v103
	v_fmac_f32_e32 v191, 0xbf737871, v99
	v_sub_f32_e32 v194, v193, v194
	v_sub_f32_e32 v193, v210, v212
	;; [unrolled: 1-line block ×3, first 2 shown]
	v_fmac_f32_e32 v103, 0x3f737871, v99
	v_fmac_f32_e32 v191, 0xbf167918, v194
	v_add_f32_e32 v193, v193, v195
	v_fmac_f32_e32 v103, 0x3f167918, v194
	v_fmac_f32_e32 v191, 0x3e9e377a, v193
	;; [unrolled: 1-line block ×3, first 2 shown]
	v_add_f32_e32 v193, v210, v216
	v_fmac_f32_e32 v86, -0.5, v193
	v_mov_b32_e32 v193, v86
	v_add_f32_e32 v94, v94, v204
	v_fmac_f32_e32 v193, 0x3f737871, v194
	v_sub_f32_e32 v195, v212, v210
	v_sub_f32_e32 v196, v214, v216
	v_fmac_f32_e32 v86, 0xbf737871, v194
	v_add_f32_e32 v94, v94, v206
	v_fmac_f32_e32 v193, 0xbf167918, v99
	v_add_f32_e32 v195, v195, v196
	;; [unrolled: 2-line block ×3, first 2 shown]
	v_fmac_f32_e32 v193, 0x3e9e377a, v195
	v_fmac_f32_e32 v86, 0x3e9e377a, v195
	ds_write_b64 v143, v[87:88] offset:2688
	ds_write_b64 v143, v[91:92] offset:5376
	;; [unrolled: 1-line block ×4, first 2 shown]
	ds_write2_b64 v143, v[89:90], v[93:94] offset1:112
	ds_write_b64 v143, v[186:187] offset:6272
	ds_write_b64 v143, v[81:82] offset:8960
	;; [unrolled: 1-line block ×4, first 2 shown]
	ds_write2_b64 v76, v[97:98], v[190:191] offset0:64 offset1:176
	ds_write_b64 v143, v[192:193] offset:7168
	ds_write_b64 v143, v[85:86] offset:9856
	;; [unrolled: 1-line block ×3, first 2 shown]
	v_add_co_u32_e32 v72, vcc, s4, v141
	v_addc_co_u32_e32 v73, vcc, 0, v83, vcc
	s_waitcnt lgkmcnt(0)
	s_barrier
	global_load_dwordx2 v[85:86], v[72:73], off offset:1152
	v_add_co_u32_e32 v79, vcc, s5, v141
	v_addc_co_u32_e32 v80, vcc, 0, v83, vcc
	s_movk_i32 s4, 0x3480
	global_load_dwordx2 v[89:90], v[79:80], off offset:3776
	v_add_co_u32_e32 v72, vcc, s4, v141
	v_addc_co_u32_e32 v73, vcc, 0, v83, vcc
	global_load_dwordx2 v[91:92], v[72:73], off offset:896
	s_movk_i32 s4, 0x5000
	v_add_co_u32_e32 v81, vcc, s4, v141
	v_addc_co_u32_e32 v82, vcc, 0, v83, vcc
	global_load_dwordx2 v[93:94], v[81:82], off offset:576
	global_load_dwordx2 v[95:96], v[72:73], off offset:1792
	;; [unrolled: 1-line block ×8, first 2 shown]
	s_movk_i32 s4, 0x6000
	v_add_co_u32_e32 v81, vcc, s4, v141
	v_addc_co_u32_e32 v82, vcc, 0, v83, vcc
	global_load_dwordx2 v[196:197], v[81:82], off offset:64
	global_load_dwordx2 v[198:199], v[79:80], off offset:2432
	;; [unrolled: 1-line block ×3, first 2 shown]
	ds_read2_b64 v[79:82], v143 offset1:112
	s_waitcnt vmcnt(13) lgkmcnt(0)
	v_mul_f32_e32 v83, v80, v86
	v_mul_f32_e32 v88, v79, v86
	v_fma_f32 v87, v79, v85, -v83
	v_fmac_f32_e32 v88, v80, v85
	ds_write_b64 v143, v[87:88]
	ds_read2_b64 v[85:88], v74 offset0:32 offset1:200
	s_waitcnt vmcnt(12) lgkmcnt(0)
	v_mul_f32_e32 v79, v88, v90
	v_fma_f32 v202, v87, v89, -v79
	v_mul_f32_e32 v203, v87, v90
	v_add_u32_e32 v79, 0x1c00, v143
	v_fmac_f32_e32 v203, v88, v89
	ds_read2_b64 v[87:90], v79 offset0:56 offset1:168
	s_waitcnt vmcnt(11)
	v_mul_f32_e32 v80, v82, v92
	v_mul_f32_e32 v205, v81, v92
	v_fma_f32 v204, v81, v91, -v80
	v_fmac_f32_e32 v205, v82, v91
	ds_read2_b64 v[80:83], v77 offset0:96 offset1:208
	s_waitcnt vmcnt(10) lgkmcnt(1)
	v_mul_f32_e32 v91, v88, v94
	v_mul_f32_e32 v92, v87, v94
	v_fma_f32 v91, v87, v93, -v91
	v_fmac_f32_e32 v92, v88, v93
	ds_write2_b64 v78, v[202:203], v[91:92] offset0:72 offset1:184
	s_waitcnt vmcnt(9) lgkmcnt(1)
	v_mul_f32_e32 v78, v81, v96
	v_fma_f32 v87, v80, v95, -v78
	v_mul_f32_e32 v88, v80, v96
	s_waitcnt vmcnt(8)
	v_mul_f32_e32 v78, v90, v98
	v_fmac_f32_e32 v88, v81, v95
	v_fma_f32 v91, v89, v97, -v78
	v_mul_f32_e32 v92, v89, v98
	v_add_u32_e32 v78, 0x2400, v143
	ds_write2_b64 v143, v[204:205], v[87:88] offset0:112 offset1:224
	v_fmac_f32_e32 v92, v90, v97
	ds_read2_b64 v[87:90], v78 offset0:24 offset1:136
	s_waitcnt vmcnt(7)
	v_mul_f32_e32 v80, v83, v187
	v_mul_f32_e32 v94, v82, v187
	v_fma_f32 v93, v82, v186, -v80
	v_fmac_f32_e32 v94, v83, v186
	ds_read2_b64 v[80:83], v76 offset0:64 offset1:176
	s_waitcnt vmcnt(6) lgkmcnt(1)
	v_mul_f32_e32 v95, v88, v189
	v_mul_f32_e32 v96, v87, v189
	v_fma_f32 v95, v87, v188, -v95
	v_fmac_f32_e32 v96, v88, v188
	ds_write2_b64 v75, v[91:92], v[95:96] offset0:40 offset1:152
	s_waitcnt vmcnt(5) lgkmcnt(1)
	v_mul_f32_e32 v75, v81, v191
	v_mul_f32_e32 v88, v80, v191
	v_fma_f32 v87, v80, v190, -v75
	v_fmac_f32_e32 v88, v81, v190
	v_add_u32_e32 v75, 0x800, v143
	ds_write2_b64 v75, v[93:94], v[87:88] offset0:80 offset1:192
	s_waitcnt vmcnt(4)
	v_mul_f32_e32 v75, v90, v193
	v_mul_f32_e32 v81, v89, v193
	v_fma_f32 v80, v89, v192, -v75
	v_fmac_f32_e32 v81, v90, v192
	ds_read2_b64 v[87:90], v84 offset0:120 offset1:232
	s_waitcnt vmcnt(3)
	v_mul_f32_e32 v75, v83, v195
	v_mul_f32_e32 v92, v82, v195
	v_fma_f32 v91, v82, v194, -v75
	v_fmac_f32_e32 v92, v83, v194
	s_waitcnt vmcnt(2) lgkmcnt(0)
	v_mul_f32_e32 v75, v88, v197
	v_mul_f32_e32 v83, v87, v197
	v_fma_f32 v82, v87, v196, -v75
	v_fmac_f32_e32 v83, v88, v196
	ds_write2_b64 v84, v[80:81], v[82:83] offset0:8 offset1:120
	s_waitcnt vmcnt(1)
	v_mul_f32_e32 v75, v86, v199
	v_mul_f32_e32 v81, v85, v199
	v_fma_f32 v80, v85, v198, -v75
	v_fmac_f32_e32 v81, v86, v198
	v_add_u32_e32 v75, 0x1000, v143
	ds_write2_b64 v75, v[91:92], v[80:81] offset0:48 offset1:160
	s_waitcnt vmcnt(0)
	v_mul_f32_e32 v75, v90, v201
	v_mul_f32_e32 v81, v89, v201
	v_fma_f32 v80, v89, v200, -v75
	v_fmac_f32_e32 v81, v90, v200
	ds_write_b64 v143, v[80:81] offset:12096
	s_and_saveexec_b64 s[4:5], s[0:1]
	s_cbranch_execz .LBB0_25
; %bb.24:
	v_add_co_u32_e32 v80, vcc, 0x1000, v72
	v_addc_co_u32_e32 v81, vcc, 0, v73, vcc
	v_add_co_u32_e32 v72, vcc, 0x3000, v72
	global_load_dwordx2 v[80:81], v[80:81], off offset:2176
	v_addc_co_u32_e32 v73, vcc, 0, v73, vcc
	global_load_dwordx2 v[72:73], v[72:73], off offset:704
	ds_read_b64 v[82:83], v143 offset:6272
	ds_read_b64 v[85:86], v143 offset:12992
	s_waitcnt vmcnt(1) lgkmcnt(1)
	v_mul_f32_e32 v75, v83, v81
	v_mul_f32_e32 v88, v82, v81
	v_fma_f32 v87, v82, v80, -v75
	s_waitcnt vmcnt(0) lgkmcnt(0)
	v_mul_f32_e32 v75, v86, v73
	v_mul_f32_e32 v81, v85, v73
	v_fmac_f32_e32 v88, v83, v80
	v_fma_f32 v80, v85, v72, -v75
	v_fmac_f32_e32 v81, v86, v72
	ds_write_b64 v143, v[87:88] offset:6272
	ds_write_b64 v143, v[80:81] offset:12992
.LBB0_25:
	s_or_b64 exec, exec, s[4:5]
	s_waitcnt lgkmcnt(0)
	s_barrier
	ds_read2_b64 v[80:83], v143 offset1:112
	ds_read2_b64 v[72:75], v74 offset0:32 offset1:200
	ds_read2_b64 v[96:99], v79 offset0:56 offset1:168
	;; [unrolled: 1-line block ×6, first 2 shown]
	v_lshlrev_b32_e32 v186, 3, v158
	v_lshlrev_b32_e32 v158, 3, v161
	s_and_saveexec_b64 s[4:5], s[0:1]
	s_cbranch_execz .LBB0_27
; %bb.26:
	ds_read_b64 v[102:103], v143 offset:6272
	ds_read_b64 v[100:101], v143 offset:12992
.LBB0_27:
	s_or_b64 exec, exec, s[4:5]
	s_waitcnt lgkmcnt(0)
	v_sub_f32_e32 v197, v78, v84
	v_sub_f32_e32 v198, v79, v85
	;; [unrolled: 1-line block ×8, first 2 shown]
	v_fma_f32 v195, v78, 2.0, -v197
	v_fma_f32 v196, v79, 2.0, -v198
	v_sub_f32_e32 v78, v72, v86
	v_sub_f32_e32 v79, v73, v87
	;; [unrolled: 1-line block ×4, first 2 shown]
	v_fma_f32 v187, v80, 2.0, -v189
	v_fma_f32 v188, v81, 2.0, -v190
	;; [unrolled: 1-line block ×4, first 2 shown]
	v_sub_f32_e32 v82, v88, v98
	v_sub_f32_e32 v83, v89, v99
	;; [unrolled: 1-line block ×4, first 2 shown]
	v_fma_f32 v94, v76, 2.0, -v96
	v_fma_f32 v95, v77, 2.0, -v97
	;; [unrolled: 1-line block ×10, first 2 shown]
	s_barrier
	ds_write_b128 v147, v[187:190]
	ds_write_b128 v148, v[191:194]
	;; [unrolled: 1-line block ×7, first 2 shown]
	s_and_saveexec_b64 s[4:5], s[0:1]
	s_cbranch_execz .LBB0_29
; %bb.28:
	ds_write_b128 v152, v[72:75]
.LBB0_29:
	s_or_b64 exec, exec, s[4:5]
	v_add_u32_e32 v84, 0x1c00, v143
	v_add_u32_e32 v88, 0x2400, v143
	s_waitcnt lgkmcnt(0)
	s_barrier
	v_add_u32_e32 v76, 0x1400, v143
	ds_read2_b64 v[100:103], v84 offset0:56 offset1:168
	v_add_u32_e32 v84, 0x400, v143
	ds_read2_b64 v[96:99], v88 offset0:24 offset1:136
	v_add_u32_e32 v88, 0xc00, v143
	v_add_u32_e32 v92, 0x2800, v143
	ds_read2_b64 v[80:83], v143 offset1:112
	ds_read2_b64 v[76:79], v76 offset0:32 offset1:200
	ds_read2_b64 v[84:87], v84 offset0:96 offset1:208
	;; [unrolled: 1-line block ×4, first 2 shown]
	s_and_saveexec_b64 s[4:5], s[0:1]
	s_cbranch_execz .LBB0_31
; %bb.30:
	ds_read_b64 v[72:73], v143 offset:6272
	ds_read_b64 v[74:75], v143 offset:12992
.LBB0_31:
	s_or_b64 exec, exec, s[4:5]
	s_waitcnt lgkmcnt(3)
	v_mul_f32_e32 v147, v134, v79
	v_fmac_f32_e32 v147, v133, v78
	v_mul_f32_e32 v78, v134, v78
	v_fma_f32 v78, v133, v79, -v78
	v_mul_f32_e32 v148, v134, v101
	v_mul_f32_e32 v79, v134, v100
	v_fmac_f32_e32 v148, v133, v100
	v_fma_f32 v100, v133, v101, -v79
	v_mul_f32_e32 v101, v134, v103
	v_mul_f32_e32 v79, v134, v102
	v_fmac_f32_e32 v101, v133, v102
	;; [unrolled: 4-line block ×3, first 2 shown]
	v_fma_f32 v96, v133, v97, -v79
	v_mul_f32_e32 v97, v134, v99
	v_mul_f32_e32 v79, v134, v98
	s_waitcnt lgkmcnt(0)
	v_mul_f32_e32 v153, v134, v75
	v_fmac_f32_e32 v97, v133, v98
	v_fma_f32 v98, v133, v99, -v79
	v_mul_f32_e32 v79, v134, v92
	v_fmac_f32_e32 v153, v133, v74
	v_mul_f32_e32 v74, v134, v74
	v_mul_f32_e32 v99, v134, v93
	v_fma_f32 v150, v133, v93, -v79
	v_mul_f32_e32 v151, v134, v95
	v_mul_f32_e32 v79, v134, v94
	v_fma_f32 v158, v133, v75, -v74
	v_fmac_f32_e32 v99, v133, v92
	v_fmac_f32_e32 v151, v133, v94
	v_fma_f32 v152, v133, v95, -v79
	v_sub_f32_e32 v74, v80, v147
	v_sub_f32_e32 v75, v81, v78
	;; [unrolled: 1-line block ×6, first 2 shown]
	v_fma_f32 v78, v80, 2.0, -v74
	v_fma_f32 v79, v81, 2.0, -v75
	v_sub_f32_e32 v80, v82, v148
	v_sub_f32_e32 v81, v83, v100
	;; [unrolled: 1-line block ×10, first 2 shown]
	v_fma_f32 v100, v72, 2.0, -v102
	v_fma_f32 v101, v73, 2.0, -v103
	;; [unrolled: 1-line block ×14, first 2 shown]
	s_barrier
	ds_write2_b64 v157, v[78:79], v[74:75] offset1:2
	ds_write2_b64 v156, v[82:83], v[80:81] offset1:2
	;; [unrolled: 1-line block ×7, first 2 shown]
	s_and_saveexec_b64 s[4:5], s[0:1]
	s_cbranch_execz .LBB0_33
; %bb.32:
	s_movk_i32 s6, 0x6fc
	v_and_or_b32 v72, v145, s6, v146
	v_lshlrev_b32_e32 v72, 3, v72
	ds_write2_b64 v72, v[100:101], v[102:103] offset1:2
.LBB0_33:
	s_or_b64 exec, exec, s[4:5]
	v_add_u32_e32 v80, 0x1c00, v143
	v_add_u32_e32 v84, 0x2400, v143
	s_waitcnt lgkmcnt(0)
	s_barrier
	v_add_u32_e32 v72, 0x1400, v143
	ds_read2_b64 v[96:99], v80 offset0:56 offset1:168
	v_add_u32_e32 v80, 0x400, v143
	ds_read2_b64 v[92:95], v84 offset0:24 offset1:136
	v_add_u32_e32 v84, 0xc00, v143
	v_add_u32_e32 v88, 0x2800, v143
	ds_read2_b64 v[76:79], v143 offset1:112
	ds_read2_b64 v[72:75], v72 offset0:32 offset1:200
	ds_read2_b64 v[80:83], v80 offset0:96 offset1:208
	;; [unrolled: 1-line block ×4, first 2 shown]
	s_and_saveexec_b64 s[4:5], s[0:1]
	s_cbranch_execz .LBB0_35
; %bb.34:
	ds_read_b64 v[100:101], v143 offset:6272
	ds_read_b64 v[102:103], v143 offset:12992
.LBB0_35:
	s_or_b64 exec, exec, s[4:5]
	s_waitcnt lgkmcnt(3)
	v_mul_f32_e32 v133, v136, v75
	v_fmac_f32_e32 v133, v135, v74
	v_mul_f32_e32 v74, v136, v74
	v_fma_f32 v75, v135, v75, -v74
	v_mul_f32_e32 v134, v136, v97
	v_mul_f32_e32 v74, v136, v96
	v_fmac_f32_e32 v134, v135, v96
	v_fma_f32 v96, v135, v97, -v74
	v_mul_f32_e32 v97, v136, v99
	v_mul_f32_e32 v74, v136, v98
	v_fmac_f32_e32 v97, v135, v98
	v_fma_f32 v98, v135, v99, -v74
	v_mul_f32_e32 v74, v136, v92
	v_mul_f32_e32 v99, v136, v93
	v_fma_f32 v93, v135, v93, -v74
	v_mul_f32_e32 v74, v136, v94
	v_mul_f32_e32 v146, v136, v95
	v_fma_f32 v95, v135, v95, -v74
	s_waitcnt lgkmcnt(0)
	v_mul_f32_e32 v74, v136, v88
	v_fma_f32 v148, v135, v89, -v74
	v_mul_f32_e32 v74, v136, v90
	v_fma_f32 v151, v135, v91, -v74
	v_mul_f32_e32 v152, v136, v103
	v_mul_f32_e32 v74, v136, v102
	;; [unrolled: 1-line block ×4, first 2 shown]
	v_fmac_f32_e32 v152, v135, v102
	v_fma_f32 v103, v135, v103, -v74
	v_fmac_f32_e32 v99, v135, v92
	v_fmac_f32_e32 v146, v135, v94
	;; [unrolled: 1-line block ×4, first 2 shown]
	v_sub_f32_e32 v74, v76, v133
	v_sub_f32_e32 v75, v77, v75
	;; [unrolled: 1-line block ×4, first 2 shown]
	v_fma_f32 v76, v76, 2.0, -v74
	v_fma_f32 v77, v77, 2.0, -v75
	v_sub_f32_e32 v88, v78, v134
	v_sub_f32_e32 v89, v79, v96
	;; [unrolled: 1-line block ×12, first 2 shown]
	v_fma_f32 v100, v100, 2.0, -v102
	v_fma_f32 v101, v101, 2.0, -v103
	;; [unrolled: 1-line block ×14, first 2 shown]
	s_barrier
	ds_write2_b64 v167, v[76:77], v[74:75] offset1:4
	ds_write2_b64 v166, v[78:79], v[88:89] offset1:4
	;; [unrolled: 1-line block ×7, first 2 shown]
	s_and_saveexec_b64 s[4:5], s[0:1]
	s_cbranch_execz .LBB0_37
; %bb.36:
	s_movk_i32 s6, 0x6f8
	v_and_or_b32 v72, v145, s6, v149
	v_lshlrev_b32_e32 v72, 3, v72
	ds_write2_b64 v72, v[100:101], v[102:103] offset1:4
.LBB0_37:
	s_or_b64 exec, exec, s[4:5]
	v_add_u32_e32 v80, 0x1c00, v143
	v_add_u32_e32 v84, 0x2400, v143
	s_waitcnt lgkmcnt(0)
	s_barrier
	v_add_u32_e32 v72, 0x1400, v143
	ds_read2_b64 v[96:99], v80 offset0:56 offset1:168
	v_add_u32_e32 v80, 0x400, v143
	ds_read2_b64 v[92:95], v84 offset0:24 offset1:136
	v_add_u32_e32 v84, 0xc00, v143
	v_add_u32_e32 v88, 0x2800, v143
	ds_read2_b64 v[76:79], v143 offset1:112
	ds_read2_b64 v[72:75], v72 offset0:32 offset1:200
	ds_read2_b64 v[80:83], v80 offset0:96 offset1:208
	;; [unrolled: 1-line block ×4, first 2 shown]
	s_and_saveexec_b64 s[4:5], s[0:1]
	s_cbranch_execz .LBB0_39
; %bb.38:
	ds_read_b64 v[100:101], v143 offset:6272
	ds_read_b64 v[102:103], v143 offset:12992
.LBB0_39:
	s_or_b64 exec, exec, s[4:5]
	s_waitcnt lgkmcnt(3)
	v_mul_f32_e32 v133, v138, v75
	v_fmac_f32_e32 v133, v137, v74
	v_mul_f32_e32 v74, v138, v74
	v_fma_f32 v74, v137, v75, -v74
	v_mul_f32_e32 v75, v138, v97
	v_fmac_f32_e32 v75, v137, v96
	v_mul_f32_e32 v96, v138, v96
	v_fma_f32 v96, v137, v97, -v96
	v_mul_f32_e32 v97, v138, v99
	v_fmac_f32_e32 v97, v137, v98
	v_mul_f32_e32 v98, v138, v98
	s_waitcnt lgkmcnt(0)
	v_mul_f32_e32 v146, v138, v89
	v_fma_f32 v98, v137, v99, -v98
	v_mul_f32_e32 v99, v138, v93
	v_fmac_f32_e32 v146, v137, v88
	v_mul_f32_e32 v88, v138, v88
	v_fmac_f32_e32 v99, v137, v92
	v_mul_f32_e32 v92, v138, v92
	v_fma_f32 v147, v137, v89, -v88
	v_mul_f32_e32 v88, v138, v90
	v_fma_f32 v134, v137, v93, -v92
	v_mul_f32_e32 v135, v138, v95
	v_mul_f32_e32 v92, v138, v94
	;; [unrolled: 1-line block ×3, first 2 shown]
	v_fma_f32 v149, v137, v91, -v88
	v_mul_f32_e32 v150, v138, v103
	v_mul_f32_e32 v88, v138, v102
	v_fmac_f32_e32 v135, v137, v94
	v_fma_f32 v136, v137, v95, -v92
	v_fmac_f32_e32 v148, v137, v90
	v_fmac_f32_e32 v150, v137, v102
	v_fma_f32 v137, v137, v103, -v88
	v_sub_f32_e32 v88, v76, v133
	v_sub_f32_e32 v89, v77, v74
	v_fma_f32 v76, v76, 2.0, -v88
	v_fma_f32 v77, v77, 2.0, -v89
	v_sub_f32_e32 v90, v78, v75
	v_sub_f32_e32 v91, v79, v96
	v_sub_f32_e32 v92, v80, v97
	v_sub_f32_e32 v93, v81, v98
	v_sub_f32_e32 v94, v82, v99
	v_sub_f32_e32 v95, v83, v134
	v_sub_f32_e32 v96, v84, v135
	v_sub_f32_e32 v97, v85, v136
	v_sub_f32_e32 v98, v86, v146
	v_sub_f32_e32 v99, v87, v147
	v_sub_f32_e32 v102, v72, v148
	v_sub_f32_e32 v103, v73, v149
	v_sub_f32_e32 v74, v100, v150
	v_sub_f32_e32 v75, v101, v137
	v_fma_f32 v78, v78, 2.0, -v90
	v_fma_f32 v79, v79, 2.0, -v91
	;; [unrolled: 1-line block ×12, first 2 shown]
	s_barrier
	ds_write2_b64 v175, v[76:77], v[88:89] offset1:8
	ds_write2_b64 v174, v[78:79], v[90:91] offset1:8
	;; [unrolled: 1-line block ×7, first 2 shown]
	s_and_saveexec_b64 s[4:5], s[0:1]
	s_cbranch_execz .LBB0_41
; %bb.40:
	s_movk_i32 s6, 0x6f0
	v_and_or_b32 v76, v145, s6, v159
	v_fma_f32 v73, v101, 2.0, -v75
	v_fma_f32 v72, v100, 2.0, -v74
	v_lshlrev_b32_e32 v76, 3, v76
	ds_write2_b64 v76, v[72:73], v[74:75] offset1:8
.LBB0_41:
	s_or_b64 exec, exec, s[4:5]
	v_add_u32_e32 v133, 0xc00, v143
	s_waitcnt lgkmcnt(0)
	s_barrier
	ds_read2_b64 v[76:79], v133 offset0:64 offset1:176
	v_add_u32_e32 v72, 0x2000, v143
	ds_read2_b64 v[84:87], v72 offset0:96 offset1:208
	v_add_u32_e32 v134, 0x1400, v143
	ds_read2_b64 v[88:91], v134 offset0:32 offset1:144
	s_waitcnt lgkmcnt(2)
	v_mul_f32_e32 v136, v13, v79
	v_fmac_f32_e32 v136, v12, v78
	v_mul_f32_e32 v78, v13, v78
	v_add_u32_e32 v72, 0x2800, v143
	v_fma_f32 v78, v12, v79, -v78
	s_waitcnt lgkmcnt(1)
	v_mul_f32_e32 v79, v15, v85
	ds_read2_b64 v[96:99], v72 offset0:64 offset1:176
	v_fmac_f32_e32 v79, v14, v84
	v_mul_f32_e32 v84, v15, v84
	v_add_u32_e32 v135, 0x400, v143
	v_add_u32_e32 v72, 0x1800, v143
	v_fma_f32 v84, v14, v85, -v84
	s_waitcnt lgkmcnt(1)
	v_mul_f32_e32 v85, v13, v89
	ds_read2_b64 v[80:83], v143 offset1:112
	ds_read2_b64 v[92:95], v135 offset0:96 offset1:208
	ds_read2_b64 v[100:103], v72 offset0:128 offset1:240
	ds_read_b64 v[72:73], v143 offset:12544
	v_fmac_f32_e32 v85, v12, v88
	v_mul_f32_e32 v88, v13, v88
	v_fma_f32 v88, v12, v89, -v88
	v_mul_f32_e32 v89, v15, v87
	v_fmac_f32_e32 v89, v14, v86
	v_mul_f32_e32 v86, v15, v86
	v_mul_f32_e32 v137, v13, v91
	v_fma_f32 v86, v14, v87, -v86
	v_fmac_f32_e32 v137, v12, v90
	v_mul_f32_e32 v87, v13, v90
	s_waitcnt lgkmcnt(4)
	v_mul_f32_e32 v90, v15, v97
	v_fma_f32 v87, v12, v91, -v87
	v_fmac_f32_e32 v90, v14, v96
	v_mul_f32_e32 v91, v15, v96
	s_waitcnt lgkmcnt(1)
	v_mul_f32_e32 v96, v13, v101
	v_fma_f32 v91, v14, v97, -v91
	v_fmac_f32_e32 v96, v12, v100
	v_mul_f32_e32 v97, v13, v100
	v_mul_f32_e32 v100, v15, v99
	v_fmac_f32_e32 v100, v14, v98
	v_mul_f32_e32 v98, v15, v98
	v_fma_f32 v98, v14, v99, -v98
	v_mul_f32_e32 v99, v13, v103
	v_mul_f32_e32 v13, v13, v102
	v_fma_f32 v97, v12, v101, -v97
	v_fmac_f32_e32 v99, v12, v102
	v_fma_f32 v101, v12, v103, -v13
	s_waitcnt lgkmcnt(0)
	v_mul_f32_e32 v102, v15, v73
	v_mul_f32_e32 v12, v15, v72
	v_add_f32_e32 v13, v136, v79
	v_fmac_f32_e32 v102, v14, v72
	v_fma_f32 v103, v14, v73, -v12
	v_fma_f32 v14, -0.5, v13, v80
	v_add_f32_e32 v15, v78, v84
	v_add_f32_e32 v12, v80, v136
	v_sub_f32_e32 v13, v78, v84
	v_mov_b32_e32 v72, v14
	v_fma_f32 v15, -0.5, v15, v81
	v_add_f32_e32 v12, v12, v79
	v_fmac_f32_e32 v72, 0xbf5db3d7, v13
	v_fmac_f32_e32 v14, 0x3f5db3d7, v13
	v_add_f32_e32 v13, v81, v78
	v_sub_f32_e32 v78, v136, v79
	v_mov_b32_e32 v73, v15
	v_add_f32_e32 v79, v85, v89
	v_fmac_f32_e32 v73, 0x3f5db3d7, v78
	v_fmac_f32_e32 v15, 0xbf5db3d7, v78
	v_add_f32_e32 v78, v82, v85
	v_fma_f32 v82, -0.5, v79, v82
	v_sub_f32_e32 v79, v88, v86
	v_mov_b32_e32 v80, v82
	v_add_f32_e32 v13, v13, v84
	v_fmac_f32_e32 v80, 0xbf5db3d7, v79
	v_fmac_f32_e32 v82, 0x3f5db3d7, v79
	v_add_f32_e32 v79, v83, v88
	v_sub_f32_e32 v84, v85, v89
	v_add_f32_e32 v85, v137, v90
	v_add_f32_e32 v79, v79, v86
	;; [unrolled: 1-line block ×3, first 2 shown]
	v_fma_f32 v86, -0.5, v85, v92
	v_fmac_f32_e32 v83, -0.5, v81
	v_sub_f32_e32 v85, v87, v91
	v_mov_b32_e32 v88, v86
	v_mov_b32_e32 v81, v83
	v_fmac_f32_e32 v88, 0xbf5db3d7, v85
	v_fmac_f32_e32 v86, 0x3f5db3d7, v85
	v_add_f32_e32 v85, v93, v87
	v_add_f32_e32 v87, v87, v91
	v_fmac_f32_e32 v81, 0x3f5db3d7, v84
	v_fmac_f32_e32 v83, 0xbf5db3d7, v84
	v_add_f32_e32 v84, v92, v137
	v_fma_f32 v87, -0.5, v87, v93
	v_add_f32_e32 v78, v78, v89
	v_add_f32_e32 v84, v84, v90
	;; [unrolled: 1-line block ×3, first 2 shown]
	v_sub_f32_e32 v90, v137, v90
	v_mov_b32_e32 v89, v87
	v_add_f32_e32 v91, v96, v100
	v_fmac_f32_e32 v89, 0x3f5db3d7, v90
	v_fmac_f32_e32 v87, 0xbf5db3d7, v90
	v_add_f32_e32 v90, v94, v96
	v_fma_f32 v94, -0.5, v91, v94
	v_sub_f32_e32 v91, v97, v98
	v_mov_b32_e32 v92, v94
	v_add_f32_e32 v93, v97, v98
	v_fmac_f32_e32 v92, 0xbf5db3d7, v91
	v_fmac_f32_e32 v94, 0x3f5db3d7, v91
	v_add_f32_e32 v91, v95, v97
	v_fmac_f32_e32 v95, -0.5, v93
	v_sub_f32_e32 v96, v96, v100
	v_mov_b32_e32 v93, v95
	v_add_f32_e32 v97, v99, v102
	v_fmac_f32_e32 v93, 0x3f5db3d7, v96
	v_fmac_f32_e32 v95, 0xbf5db3d7, v96
	v_add_f32_e32 v96, v76, v99
	v_fma_f32 v76, -0.5, v97, v76
	v_add_f32_e32 v90, v90, v100
	v_add_f32_e32 v91, v91, v98
	v_sub_f32_e32 v97, v101, v103
	v_mov_b32_e32 v98, v76
	v_add_f32_e32 v100, v101, v103
	v_fmac_f32_e32 v98, 0xbf5db3d7, v97
	v_fmac_f32_e32 v76, 0x3f5db3d7, v97
	v_add_f32_e32 v97, v77, v101
	v_fmac_f32_e32 v77, -0.5, v100
	v_sub_f32_e32 v100, v99, v102
	v_mov_b32_e32 v99, v77
	v_add_f32_e32 v96, v96, v102
	v_add_f32_e32 v97, v97, v103
	v_fmac_f32_e32 v99, 0x3f5db3d7, v100
	v_fmac_f32_e32 v77, 0xbf5db3d7, v100
	s_barrier
	ds_write2_b64 v178, v[12:13], v[72:73] offset1:16
	ds_write_b64 v178, v[14:15] offset:256
	ds_write2_b64 v179, v[78:79], v[80:81] offset1:16
	ds_write_b64 v179, v[82:83] offset:256
	ds_write2_b64 v180, v[84:85], v[88:89] offset1:16
	ds_write_b64 v180, v[86:87] offset:256
	ds_write2_b64 v181, v[90:91], v[92:93] offset1:16
	ds_write_b64 v181, v[94:95] offset:256
	ds_write2_b64 v182, v[96:97], v[98:99] offset1:16
	ds_write_b64 v182, v[76:77] offset:256
	v_add_u32_e32 v72, 0x1c00, v143
	s_waitcnt lgkmcnt(0)
	s_barrier
	ds_read2_b64 v[12:15], v143 offset1:112
	ds_read2_b64 v[98:101], v135 offset0:112 offset1:224
	ds_read2_b64 v[94:97], v133 offset0:96 offset1:208
	;; [unrolled: 1-line block ×4, first 2 shown]
	v_add_u32_e32 v72, 0x2400, v143
	ds_read2_b64 v[82:85], v72 offset0:48 offset1:160
	v_add_u32_e32 v72, 0x2c00, v143
	ds_read2_b64 v[78:81], v72 offset0:32 offset1:144
	s_and_saveexec_b64 s[4:5], s[2:3]
	s_cbranch_execz .LBB0_43
; %bb.42:
	v_add_u32_e32 v64, 0x700, v143
	ds_read2_b64 v[72:75], v64 offset1:240
	v_add_u32_e32 v64, 0x1600, v143
	v_add_u32_e32 v68, 0x2500, v143
	ds_read2_b64 v[64:67], v64 offset1:240
	ds_read2_b64 v[68:71], v68 offset1:240
	ds_read_b64 v[139:140], v143 offset:13312
	s_waitcnt lgkmcnt(3)
	v_mov_b32_e32 v76, v72
	v_mov_b32_e32 v77, v73
.LBB0_43:
	s_or_b64 exec, exec, s[4:5]
	s_waitcnt lgkmcnt(5)
	v_mul_f32_e32 v72, v41, v99
	v_mul_f32_e32 v41, v41, v98
	v_fmac_f32_e32 v72, v40, v98
	v_fma_f32 v40, v40, v99, -v41
	s_waitcnt lgkmcnt(4)
	v_mul_f32_e32 v41, v43, v95
	v_mul_f32_e32 v43, v43, v94
	v_fmac_f32_e32 v41, v42, v94
	v_fma_f32 v42, v42, v95, -v43
	;; [unrolled: 5-line block ×4, first 2 shown]
	s_waitcnt lgkmcnt(1)
	v_mul_f32_e32 v35, v29, v83
	v_fmac_f32_e32 v35, v28, v82
	v_mul_f32_e32 v29, v29, v82
	v_mul_f32_e32 v82, v21, v93
	;; [unrolled: 1-line block ×4, first 2 shown]
	v_fma_f32 v28, v28, v83, -v29
	s_waitcnt lgkmcnt(0)
	v_mul_f32_e32 v29, v31, v79
	v_mul_f32_e32 v31, v31, v78
	v_fmac_f32_e32 v82, v20, v92
	v_fma_f32 v83, v20, v93, -v21
	v_fmac_f32_e32 v86, v22, v88
	v_mul_f32_e32 v20, v23, v88
	v_mul_f32_e32 v88, v17, v85
	;; [unrolled: 1-line block ×3, first 2 shown]
	v_fmac_f32_e32 v29, v30, v78
	v_fma_f32 v30, v30, v79, -v31
	v_mul_f32_e32 v31, v25, v101
	v_mul_f32_e32 v25, v25, v100
	v_fmac_f32_e32 v88, v16, v84
	v_fma_f32 v84, v16, v85, -v17
	v_mul_f32_e32 v85, v19, v81
	v_mul_f32_e32 v16, v19, v80
	v_fmac_f32_e32 v31, v24, v100
	v_fma_f32 v73, v24, v101, -v25
	v_mul_f32_e32 v24, v27, v96
	v_fma_f32 v87, v22, v89, -v20
	v_fmac_f32_e32 v85, v18, v80
	v_fma_f32 v80, v18, v81, -v16
	v_add_f32_e32 v16, v72, v29
	v_add_f32_e32 v20, v41, v35
	v_fma_f32 v79, v26, v97, -v24
	v_add_f32_e32 v17, v40, v30
	v_add_f32_e32 v21, v42, v28
	v_sub_f32_e32 v23, v42, v28
	v_add_f32_e32 v24, v43, v33
	v_add_f32_e32 v28, v20, v16
	v_mul_f32_e32 v78, v27, v97
	v_sub_f32_e32 v18, v72, v29
	v_sub_f32_e32 v19, v40, v30
	v_add_f32_e32 v25, v32, v34
	v_add_f32_e32 v29, v21, v17
	v_sub_f32_e32 v30, v20, v16
	v_sub_f32_e32 v16, v16, v24
	;; [unrolled: 1-line block ×3, first 2 shown]
	v_add_f32_e32 v24, v24, v28
	v_fmac_f32_e32 v78, v26, v96
	v_sub_f32_e32 v22, v41, v35
	v_sub_f32_e32 v26, v33, v43
	;; [unrolled: 1-line block ×6, first 2 shown]
	v_add_f32_e32 v25, v25, v29
	v_add_f32_e32 v12, v12, v24
	;; [unrolled: 1-line block ×4, first 2 shown]
	v_sub_f32_e32 v35, v26, v22
	v_sub_f32_e32 v40, v27, v23
	;; [unrolled: 1-line block ×4, first 2 shown]
	v_add_f32_e32 v13, v13, v25
	v_mov_b32_e32 v41, v12
	v_sub_f32_e32 v26, v18, v26
	v_sub_f32_e32 v27, v19, v27
	v_add_f32_e32 v18, v33, v18
	v_add_f32_e32 v19, v34, v19
	v_mul_f32_e32 v16, 0x3f4a47b2, v16
	v_mul_f32_e32 v17, 0x3f4a47b2, v17
	;; [unrolled: 1-line block ×6, first 2 shown]
	s_mov_b32 s6, 0xbf5ff5aa
	v_mul_f32_e32 v35, 0xbf5ff5aa, v22
	v_mul_f32_e32 v40, 0xbf5ff5aa, v23
	v_fmac_f32_e32 v41, 0xbf955555, v24
	v_mov_b32_e32 v24, v13
	s_mov_b32 s7, 0x3f3bfb3b
	s_mov_b32 s14, 0xbf3bfb3b
	;; [unrolled: 1-line block ×3, first 2 shown]
	v_fmac_f32_e32 v24, 0xbf955555, v25
	v_fma_f32 v25, v30, s7, -v28
	v_fma_f32 v28, v32, s7, -v29
	;; [unrolled: 1-line block ×3, first 2 shown]
	v_fmac_f32_e32 v16, 0x3d64c772, v20
	v_fma_f32 v20, v32, s14, -v17
	v_fma_f32 v30, v22, s6, -v33
	v_fmac_f32_e32 v33, 0xbeae86e6, v26
	v_fma_f32 v22, v23, s6, -v34
	v_fmac_f32_e32 v34, 0xbeae86e6, v27
	v_fma_f32 v26, v26, s15, -v35
	v_fma_f32 v27, v27, s15, -v40
	v_fmac_f32_e32 v17, 0x3d64c772, v21
	v_add_f32_e32 v32, v16, v41
	v_add_f32_e32 v23, v25, v41
	;; [unrolled: 1-line block ×5, first 2 shown]
	v_fmac_f32_e32 v34, 0xbee1c552, v19
	v_fmac_f32_e32 v30, 0xbee1c552, v18
	;; [unrolled: 1-line block ×5, first 2 shown]
	v_add_f32_e32 v35, v17, v24
	v_fmac_f32_e32 v33, 0xbee1c552, v18
	v_add_f32_e32 v16, v34, v32
	v_add_f32_e32 v18, v27, v28
	v_sub_f32_e32 v19, v29, v26
	v_sub_f32_e32 v20, v23, v22
	v_add_f32_e32 v21, v30, v25
	v_add_f32_e32 v22, v22, v23
	v_sub_f32_e32 v23, v25, v30
	v_sub_f32_e32 v24, v28, v27
	v_add_f32_e32 v25, v26, v29
	v_sub_f32_e32 v26, v32, v34
	v_add_f32_e32 v28, v31, v85
	v_add_f32_e32 v32, v78, v88
	v_sub_f32_e32 v17, v35, v33
	v_add_f32_e32 v27, v33, v35
	v_add_f32_e32 v29, v73, v80
	;; [unrolled: 1-line block ×5, first 2 shown]
	v_sub_f32_e32 v30, v31, v85
	v_sub_f32_e32 v31, v73, v80
	;; [unrolled: 1-line block ×3, first 2 shown]
	v_add_f32_e32 v41, v83, v87
	v_add_f32_e32 v73, v33, v29
	v_sub_f32_e32 v78, v32, v28
	v_sub_f32_e32 v28, v28, v40
	;; [unrolled: 1-line block ×3, first 2 shown]
	v_add_f32_e32 v40, v40, v72
	v_sub_f32_e32 v35, v79, v84
	v_sub_f32_e32 v42, v86, v82
	;; [unrolled: 1-line block ×6, first 2 shown]
	v_add_f32_e32 v41, v41, v73
	v_add_f32_e32 v14, v14, v40
	;; [unrolled: 1-line block ×4, first 2 shown]
	v_sub_f32_e32 v82, v42, v34
	v_sub_f32_e32 v83, v43, v35
	;; [unrolled: 1-line block ×4, first 2 shown]
	v_add_f32_e32 v15, v15, v41
	v_mov_b32_e32 v84, v14
	v_sub_f32_e32 v42, v30, v42
	v_sub_f32_e32 v43, v31, v43
	v_add_f32_e32 v30, v80, v30
	v_add_f32_e32 v31, v81, v31
	v_mul_f32_e32 v28, 0x3f4a47b2, v28
	v_mul_f32_e32 v29, 0x3f4a47b2, v29
	;; [unrolled: 1-line block ×8, first 2 shown]
	v_fmac_f32_e32 v84, 0xbf955555, v40
	v_mov_b32_e32 v40, v15
	v_fmac_f32_e32 v40, 0xbf955555, v41
	v_fma_f32 v41, v78, s7, -v72
	v_fma_f32 v72, v79, s7, -v73
	;; [unrolled: 1-line block ×3, first 2 shown]
	v_fmac_f32_e32 v28, 0x3d64c772, v32
	v_fma_f32 v32, v79, s14, -v29
	v_fmac_f32_e32 v29, 0x3d64c772, v33
	v_fma_f32 v78, v34, s6, -v80
	;; [unrolled: 2-line block ×4, first 2 shown]
	v_fma_f32 v43, v43, s15, -v83
	v_add_f32_e32 v79, v28, v84
	v_add_f32_e32 v82, v29, v40
	;; [unrolled: 1-line block ×6, first 2 shown]
	v_fmac_f32_e32 v80, 0xbee1c552, v30
	v_fmac_f32_e32 v81, 0xbee1c552, v31
	;; [unrolled: 1-line block ×6, first 2 shown]
	v_add_f32_e32 v28, v81, v79
	v_sub_f32_e32 v29, v82, v80
	v_add_f32_e32 v30, v43, v72
	v_sub_f32_e32 v31, v73, v42
	v_sub_f32_e32 v32, v35, v34
	v_add_f32_e32 v33, v78, v41
	v_add_f32_e32 v34, v34, v35
	v_sub_f32_e32 v35, v41, v78
	v_sub_f32_e32 v40, v72, v43
	v_add_f32_e32 v41, v42, v73
	v_sub_f32_e32 v42, v79, v81
	v_add_f32_e32 v43, v80, v82
	s_barrier
	ds_write2_b64 v184, v[12:13], v[16:17] offset1:48
	ds_write2_b64 v184, v[18:19], v[20:21] offset0:96 offset1:144
	ds_write2_b64 v184, v[22:23], v[24:25] offset0:192 offset1:240
	ds_write_b64 v184, v[26:27] offset:2304
	ds_write2_b64 v185, v[14:15], v[28:29] offset1:48
	ds_write2_b64 v185, v[30:31], v[32:33] offset0:96 offset1:144
	ds_write2_b64 v185, v[34:35], v[40:41] offset0:192 offset1:240
	ds_write_b64 v185, v[42:43] offset:2304
	s_and_saveexec_b64 s[4:5], s[2:3]
	s_cbranch_execz .LBB0_45
; %bb.44:
	v_mul_f32_e32 v12, v1, v75
	v_mul_f32_e32 v13, v11, v140
	;; [unrolled: 1-line block ×4, first 2 shown]
	v_fmac_f32_e32 v12, v0, v74
	v_fmac_f32_e32 v13, v10, v139
	v_mul_f32_e32 v16, v5, v67
	v_fma_f32 v10, v10, v140, -v11
	v_fma_f32 v11, v0, v75, -v1
	v_mul_f32_e32 v0, v5, v66
	v_fmac_f32_e32 v16, v4, v66
	v_fma_f32 v4, v4, v67, -v0
	v_mul_f32_e32 v0, v7, v68
	v_fma_f32 v5, v6, v69, -v0
	v_add_f32_e32 v24, v10, v11
	v_add_f32_e32 v0, v4, v5
	v_mul_f32_e32 v15, v7, v69
	v_sub_f32_e32 v1, v24, v0
	v_fmac_f32_e32 v15, v6, v68
	v_mul_f32_e32 v6, 0x3f4a47b2, v1
	v_mul_f32_e32 v1, v9, v70
	;; [unrolled: 1-line block ×3, first 2 shown]
	v_fma_f32 v7, v8, v71, -v1
	v_mul_f32_e32 v1, v3, v64
	v_fmac_f32_e32 v19, v2, v64
	v_mul_f32_e32 v20, v9, v71
	v_fma_f32 v2, v2, v65, -v1
	v_fmac_f32_e32 v20, v8, v70
	v_add_f32_e32 v8, v7, v2
	v_sub_f32_e32 v1, v0, v8
	v_mov_b32_e32 v3, v6
	v_mul_f32_e32 v9, 0x3d64c772, v1
	v_fmac_f32_e32 v3, 0x3d64c772, v1
	v_add_f32_e32 v1, v8, v24
	v_add_f32_e32 v0, v0, v1
	;; [unrolled: 1-line block ×3, first 2 shown]
	v_mov_b32_e32 v25, v1
	v_sub_f32_e32 v14, v12, v13
	v_fmac_f32_e32 v25, 0xbf955555, v0
	v_add_f32_e32 v12, v13, v12
	v_add_f32_e32 v0, v16, v15
	v_sub_f32_e32 v13, v12, v0
	v_sub_f32_e32 v17, v15, v16
	v_mul_f32_e32 v13, 0x3f4a47b2, v13
	v_add_f32_e32 v15, v20, v19
	v_sub_f32_e32 v21, v19, v20
	v_sub_f32_e32 v16, v0, v15
	v_mov_b32_e32 v20, v13
	v_mul_f32_e32 v19, 0x3d64c772, v16
	v_fmac_f32_e32 v20, 0x3d64c772, v16
	v_add_f32_e32 v16, v15, v12
	v_add_f32_e32 v16, v0, v16
	;; [unrolled: 1-line block ×3, first 2 shown]
	v_sub_f32_e32 v18, v14, v17
	v_sub_f32_e32 v22, v17, v21
	v_add_f32_e32 v17, v17, v21
	v_mov_b32_e32 v27, v0
	v_sub_f32_e32 v4, v5, v4
	v_sub_f32_e32 v7, v2, v7
	v_mul_f32_e32 v22, 0x3f08b237, v22
	v_add_f32_e32 v17, v17, v14
	v_fmac_f32_e32 v27, 0xbf955555, v16
	v_sub_f32_e32 v10, v11, v10
	v_sub_f32_e32 v2, v4, v7
	;; [unrolled: 1-line block ×3, first 2 shown]
	v_mov_b32_e32 v23, v22
	v_add_f32_e32 v16, v20, v27
	v_sub_f32_e32 v11, v10, v4
	v_mul_f32_e32 v20, 0x3f08b237, v2
	v_add_f32_e32 v2, v4, v7
	v_mul_f32_e32 v4, 0xbf5ff5aa, v14
	v_sub_f32_e32 v8, v8, v24
	v_fmac_f32_e32 v23, 0xbeae86e6, v18
	v_fma_f32 v18, v18, s15, -v4
	v_fma_f32 v4, v8, s14, -v6
	v_sub_f32_e32 v6, v15, v12
	v_add_f32_e32 v29, v2, v10
	v_add_f32_e32 v21, v4, v25
	v_fma_f32 v4, v6, s14, -v13
	v_sub_f32_e32 v10, v7, v10
	v_mov_b32_e32 v28, v20
	v_add_f32_e32 v12, v4, v27
	v_mul_f32_e32 v4, 0xbf5ff5aa, v10
	v_fmac_f32_e32 v28, 0xbeae86e6, v11
	v_fma_f32 v13, v11, s15, -v4
	v_fma_f32 v7, v8, s7, -v9
	;; [unrolled: 1-line block ×5, first 2 shown]
	v_fmac_f32_e32 v23, 0xbee1c552, v17
	v_add_f32_e32 v26, v3, v25
	v_fmac_f32_e32 v28, 0xbee1c552, v29
	v_fmac_f32_e32 v13, 0xbee1c552, v29
	v_add_f32_e32 v8, v7, v25
	v_fmac_f32_e32 v9, 0xbee1c552, v17
	;; [unrolled: 3-line block ×3, first 2 shown]
	v_sub_f32_e32 v4, v12, v13
	v_sub_f32_e32 v7, v8, v9
	v_add_f32_e32 v6, v10, v11
	v_add_f32_e32 v9, v9, v8
	v_sub_f32_e32 v8, v11, v10
	v_add_f32_e32 v10, v13, v12
	v_sub_f32_e32 v13, v26, v23
	v_add_f32_e32 v12, v28, v16
	v_add_u32_e32 v14, 0x2800, v183
	v_add_f32_e32 v5, v18, v21
	v_sub_f32_e32 v11, v21, v18
	ds_write2_b64 v14, v[0:1], v[12:13] offset0:64 offset1:112
	ds_write2_b64 v14, v[10:11], v[8:9] offset0:160 offset1:208
	v_add_u32_e32 v0, 0x3000, v183
	v_add_f32_e32 v3, v23, v26
	v_sub_f32_e32 v2, v16, v28
	ds_write2_b64 v0, v[6:7], v[4:5] offset1:48
	ds_write_b64 v183, v[2:3] offset:13056
.LBB0_45:
	s_or_b64 exec, exec, s[4:5]
	v_add_u32_e32 v2, 0x400, v143
	s_waitcnt lgkmcnt(0)
	s_barrier
	ds_read2_b64 v[7:10], v2 offset0:96 offset1:208
	v_add_u32_e32 v35, 0x1400, v143
	ds_read2_b64 v[11:14], v35 offset0:32 offset1:144
	v_add_u32_e32 v0, 0x1800, v143
	;; [unrolled: 2-line block ×4, first 2 shown]
	ds_read2_b64 v[23:26], v1 offset0:64 offset1:176
	s_waitcnt lgkmcnt(4)
	v_mul_f32_e32 v40, v53, v10
	v_fmac_f32_e32 v40, v52, v9
	v_mul_f32_e32 v9, v53, v9
	v_add_u32_e32 v27, 0x2000, v143
	v_fma_f32 v41, v52, v10, -v9
	s_waitcnt lgkmcnt(3)
	v_mul_f32_e32 v9, v55, v11
	ds_read2_b64 v[3:6], v143 offset1:112
	ds_read2_b64 v[27:30], v27 offset0:96 offset1:208
	ds_read_b64 v[33:34], v143 offset:12544
	v_fma_f32 v43, v54, v12, -v9
	s_waitcnt lgkmcnt(5)
	v_mul_f32_e32 v52, v37, v18
	v_mul_f32_e32 v9, v37, v17
	v_fmac_f32_e32 v52, v36, v17
	v_fma_f32 v17, v36, v18, -v9
	s_waitcnt lgkmcnt(4)
	v_mul_f32_e32 v18, v39, v20
	v_mul_f32_e32 v9, v39, v19
	;; [unrolled: 1-line block ×3, first 2 shown]
	v_fmac_f32_e32 v18, v38, v19
	v_fma_f32 v19, v38, v20, -v9
	s_waitcnt lgkmcnt(3)
	v_mul_f32_e32 v9, v57, v23
	v_fmac_f32_e32 v42, v54, v11
	v_fma_f32 v37, v56, v24, -v9
	v_mul_f32_e32 v9, v59, v13
	v_fma_f32 v38, v58, v14, -v9
	s_waitcnt lgkmcnt(1)
	v_mul_f32_e32 v39, v45, v28
	v_mul_f32_e32 v9, v45, v27
	v_add_f32_e32 v10, v42, v52
	v_mul_f32_e32 v36, v57, v24
	v_mul_f32_e32 v24, v59, v14
	v_fmac_f32_e32 v39, v44, v27
	v_fma_f32 v27, v44, v28, -v9
	v_mul_f32_e32 v9, v47, v21
	v_fma_f32 v11, -0.5, v10, v3
	v_fmac_f32_e32 v24, v58, v13
	v_mul_f32_e32 v28, v47, v22
	v_fma_f32 v44, v46, v22, -v9
	v_mul_f32_e32 v9, v61, v25
	v_mul_f32_e32 v47, v63, v16
	v_sub_f32_e32 v10, v41, v19
	v_mov_b32_e32 v13, v11
	v_fmac_f32_e32 v28, v46, v21
	v_fma_f32 v46, v60, v26, -v9
	v_fmac_f32_e32 v47, v62, v15
	v_mul_f32_e32 v9, v63, v15
	v_fmac_f32_e32 v13, 0xbf737871, v10
	v_sub_f32_e32 v12, v43, v17
	v_sub_f32_e32 v14, v40, v42
	v_sub_f32_e32 v15, v18, v52
	v_fmac_f32_e32 v11, 0x3f737871, v10
	v_fma_f32 v53, v62, v16, -v9
	v_mul_f32_e32 v54, v49, v30
	v_mul_f32_e32 v9, v49, v29
	v_fmac_f32_e32 v13, 0xbf167918, v12
	v_add_f32_e32 v14, v14, v15
	v_fmac_f32_e32 v11, 0x3f167918, v12
	v_fmac_f32_e32 v54, v48, v29
	v_fma_f32 v48, v48, v30, -v9
	s_waitcnt lgkmcnt(0)
	v_mul_f32_e32 v9, v51, v33
	v_fmac_f32_e32 v13, 0x3e9e377a, v14
	v_fmac_f32_e32 v11, 0x3e9e377a, v14
	v_add_f32_e32 v14, v40, v18
	v_fma_f32 v49, v50, v34, -v9
	v_add_f32_e32 v9, v3, v40
	v_fma_f32 v3, -0.5, v14, v3
	v_mov_b32_e32 v15, v3
	v_add_f32_e32 v9, v9, v42
	v_fmac_f32_e32 v15, 0x3f737871, v12
	v_sub_f32_e32 v14, v42, v40
	v_sub_f32_e32 v16, v52, v18
	v_fmac_f32_e32 v3, 0xbf737871, v12
	v_add_f32_e32 v12, v43, v17
	v_add_f32_e32 v9, v9, v52
	v_fmac_f32_e32 v15, 0xbf167918, v10
	v_add_f32_e32 v14, v14, v16
	v_fmac_f32_e32 v3, 0x3f167918, v10
	v_fma_f32 v12, -0.5, v12, v4
	v_add_f32_e32 v9, v9, v18
	v_fmac_f32_e32 v15, 0x3e9e377a, v14
	v_fmac_f32_e32 v3, 0x3e9e377a, v14
	v_sub_f32_e32 v18, v40, v18
	v_mov_b32_e32 v14, v12
	v_fmac_f32_e32 v14, 0x3f737871, v18
	v_sub_f32_e32 v20, v42, v52
	v_sub_f32_e32 v16, v41, v43
	;; [unrolled: 1-line block ×3, first 2 shown]
	v_fmac_f32_e32 v12, 0xbf737871, v18
	v_fmac_f32_e32 v14, 0x3f167918, v20
	v_add_f32_e32 v16, v16, v21
	v_fmac_f32_e32 v12, 0xbf167918, v20
	v_fmac_f32_e32 v14, 0x3e9e377a, v16
	;; [unrolled: 1-line block ×3, first 2 shown]
	v_add_f32_e32 v16, v41, v19
	v_add_f32_e32 v10, v4, v41
	v_fma_f32 v4, -0.5, v16, v4
	v_mov_b32_e32 v16, v4
	v_add_f32_e32 v10, v10, v43
	v_fmac_f32_e32 v16, 0xbf737871, v20
	v_fmac_f32_e32 v4, 0x3f737871, v20
	v_add_f32_e32 v10, v10, v17
	v_fmac_f32_e32 v16, 0x3f167918, v18
	v_fmac_f32_e32 v4, 0xbf167918, v18
	v_add_f32_e32 v18, v24, v39
	v_add_f32_e32 v10, v10, v19
	v_sub_f32_e32 v21, v43, v41
	v_sub_f32_e32 v17, v17, v19
	v_fma_f32 v19, -0.5, v18, v5
	v_fmac_f32_e32 v36, v56, v23
	v_add_f32_e32 v17, v21, v17
	v_sub_f32_e32 v18, v37, v44
	v_mov_b32_e32 v21, v19
	v_fmac_f32_e32 v21, 0xbf737871, v18
	v_sub_f32_e32 v20, v38, v27
	v_sub_f32_e32 v22, v36, v24
	;; [unrolled: 1-line block ×3, first 2 shown]
	v_fmac_f32_e32 v19, 0x3f737871, v18
	v_fmac_f32_e32 v21, 0xbf167918, v20
	v_add_f32_e32 v22, v22, v23
	v_fmac_f32_e32 v19, 0x3f167918, v20
	v_fmac_f32_e32 v21, 0x3e9e377a, v22
	;; [unrolled: 1-line block ×3, first 2 shown]
	v_add_f32_e32 v22, v36, v28
	v_fmac_f32_e32 v16, 0x3e9e377a, v17
	v_fmac_f32_e32 v4, 0x3e9e377a, v17
	v_add_f32_e32 v17, v5, v36
	v_fma_f32 v5, -0.5, v22, v5
	v_mul_f32_e32 v45, v61, v26
	v_mov_b32_e32 v23, v5
	v_fmac_f32_e32 v45, v60, v25
	v_fmac_f32_e32 v23, 0x3f737871, v20
	v_sub_f32_e32 v22, v24, v36
	v_sub_f32_e32 v25, v39, v28
	v_fmac_f32_e32 v5, 0xbf737871, v20
	v_add_f32_e32 v20, v38, v27
	v_add_f32_e32 v17, v17, v24
	v_fmac_f32_e32 v23, 0xbf167918, v18
	v_add_f32_e32 v22, v22, v25
	v_fmac_f32_e32 v5, 0x3f167918, v18
	v_fma_f32 v20, -0.5, v20, v6
	v_add_f32_e32 v17, v17, v39
	v_fmac_f32_e32 v23, 0x3e9e377a, v22
	v_fmac_f32_e32 v5, 0x3e9e377a, v22
	v_sub_f32_e32 v25, v36, v28
	v_mov_b32_e32 v22, v20
	v_add_f32_e32 v17, v17, v28
	v_fmac_f32_e32 v22, 0x3f737871, v25
	v_sub_f32_e32 v26, v24, v39
	v_sub_f32_e32 v24, v37, v38
	;; [unrolled: 1-line block ×3, first 2 shown]
	v_fmac_f32_e32 v20, 0xbf737871, v25
	v_fmac_f32_e32 v22, 0x3f167918, v26
	v_add_f32_e32 v24, v24, v28
	v_fmac_f32_e32 v20, 0xbf167918, v26
	v_fmac_f32_e32 v22, 0x3e9e377a, v24
	;; [unrolled: 1-line block ×3, first 2 shown]
	v_add_f32_e32 v24, v37, v44
	v_add_f32_e32 v18, v6, v37
	v_fmac_f32_e32 v6, -0.5, v24
	v_add_f32_e32 v18, v18, v38
	v_mov_b32_e32 v24, v6
	v_add_f32_e32 v18, v18, v27
	v_fmac_f32_e32 v24, 0xbf737871, v26
	v_sub_f32_e32 v28, v38, v37
	v_sub_f32_e32 v27, v27, v44
	v_fmac_f32_e32 v6, 0x3f737871, v26
	v_fmac_f32_e32 v24, 0x3f167918, v25
	v_add_f32_e32 v27, v28, v27
	v_fmac_f32_e32 v6, 0xbf167918, v25
	v_add_f32_e32 v26, v47, v54
	v_mul_f32_e32 v30, v51, v34
	v_fmac_f32_e32 v24, 0x3e9e377a, v27
	v_fmac_f32_e32 v6, 0x3e9e377a, v27
	v_fma_f32 v27, -0.5, v26, v7
	v_fmac_f32_e32 v30, v50, v33
	v_sub_f32_e32 v26, v46, v49
	v_mov_b32_e32 v29, v27
	v_fmac_f32_e32 v29, 0xbf737871, v26
	v_sub_f32_e32 v28, v53, v48
	v_sub_f32_e32 v33, v45, v47
	;; [unrolled: 1-line block ×3, first 2 shown]
	v_fmac_f32_e32 v27, 0x3f737871, v26
	v_fmac_f32_e32 v29, 0xbf167918, v28
	v_add_f32_e32 v33, v33, v34
	v_fmac_f32_e32 v27, 0x3f167918, v28
	v_fmac_f32_e32 v29, 0x3e9e377a, v33
	;; [unrolled: 1-line block ×3, first 2 shown]
	v_add_f32_e32 v33, v45, v30
	v_add_f32_e32 v25, v7, v45
	v_fma_f32 v7, -0.5, v33, v7
	v_mov_b32_e32 v33, v7
	v_add_f32_e32 v25, v25, v47
	v_fmac_f32_e32 v33, 0x3f737871, v28
	v_fmac_f32_e32 v7, 0xbf737871, v28
	v_add_f32_e32 v28, v53, v48
	v_add_f32_e32 v25, v25, v54
	v_sub_f32_e32 v34, v47, v45
	v_sub_f32_e32 v36, v54, v30
	v_fma_f32 v28, -0.5, v28, v8
	v_add_f32_e32 v25, v25, v30
	v_fmac_f32_e32 v33, 0xbf167918, v26
	v_add_f32_e32 v34, v34, v36
	v_fmac_f32_e32 v7, 0x3f167918, v26
	v_sub_f32_e32 v36, v45, v30
	v_mov_b32_e32 v30, v28
	v_fmac_f32_e32 v33, 0x3e9e377a, v34
	v_fmac_f32_e32 v7, 0x3e9e377a, v34
	;; [unrolled: 1-line block ×3, first 2 shown]
	v_sub_f32_e32 v37, v47, v54
	v_sub_f32_e32 v34, v46, v53
	;; [unrolled: 1-line block ×3, first 2 shown]
	v_fmac_f32_e32 v28, 0xbf737871, v36
	v_fmac_f32_e32 v30, 0x3f167918, v37
	v_add_f32_e32 v34, v34, v38
	v_fmac_f32_e32 v28, 0xbf167918, v37
	v_fmac_f32_e32 v30, 0x3e9e377a, v34
	;; [unrolled: 1-line block ×3, first 2 shown]
	v_add_f32_e32 v34, v46, v49
	v_add_f32_e32 v26, v8, v46
	v_fmac_f32_e32 v8, -0.5, v34
	v_mov_b32_e32 v34, v8
	v_add_f32_e32 v26, v26, v53
	v_fmac_f32_e32 v34, 0xbf737871, v37
	v_sub_f32_e32 v38, v53, v46
	v_sub_f32_e32 v39, v48, v49
	v_fmac_f32_e32 v8, 0x3f737871, v37
	v_mad_u64_u32 v[31:32], s[2:3], s10, v126, 0
	v_add_f32_e32 v26, v26, v48
	v_fmac_f32_e32 v34, 0x3f167918, v36
	v_add_f32_e32 v38, v38, v39
	v_fmac_f32_e32 v8, 0xbf167918, v36
	v_add_f32_e32 v18, v18, v44
	v_add_f32_e32 v26, v26, v49
	v_fmac_f32_e32 v34, 0x3e9e377a, v38
	v_fmac_f32_e32 v8, 0x3e9e377a, v38
	ds_write_b64 v143, v[13:14] offset:2688
	ds_write_b64 v143, v[15:16] offset:5376
	;; [unrolled: 1-line block ×4, first 2 shown]
	ds_write2_b64 v143, v[9:10], v[17:18] offset1:112
	ds_write_b64 v143, v[23:24] offset:6272
	ds_write_b64 v143, v[5:6] offset:8960
	;; [unrolled: 1-line block ×4, first 2 shown]
	ds_write2_b64 v1, v[21:22], v[29:30] offset0:64 offset1:176
	ds_write_b64 v143, v[33:34] offset:7168
	ds_write_b64 v143, v[7:8] offset:9856
	;; [unrolled: 1-line block ×3, first 2 shown]
	s_waitcnt lgkmcnt(0)
	s_barrier
	ds_read2_b64 v[3:6], v143 offset1:112
	v_mov_b32_e32 v7, v32
	v_mad_u64_u32 v[7:8], s[2:3], s11, v126, v[7:8]
	s_mov_b32 s2, 0x13813814
	s_waitcnt lgkmcnt(0)
	v_mul_f32_e32 v8, v128, v4
	v_fmac_f32_e32 v8, v127, v3
	v_cvt_f64_f32_e32 v[8:9], v8
	s_mov_b32 s3, 0x3f438138
	v_mad_u64_u32 v[11:12], s[4:5], s8, v144, 0
	v_mul_f64 v[8:9], v[8:9], s[2:3]
	v_mul_f32_e32 v3, v128, v3
	v_fma_f32 v3, v127, v4, -v3
	v_cvt_f64_f32_e32 v[3:4], v3
	v_mov_b32_e32 v32, v7
	v_mov_b32_e32 v7, v12
	;; [unrolled: 1-line block ×3, first 2 shown]
	v_mul_f64 v[3:4], v[3:4], s[2:3]
	v_mad_u64_u32 v[12:13], s[4:5], s9, v144, v[7:8]
	v_cvt_f32_f64_e32 v13, v[8:9]
	ds_read2_b64 v[7:10], v35 offset0:32 offset1:200
	v_lshlrev_b64 v[11:12], 3, v[11:12]
	s_mul_i32 s4, s9, 0x348
	s_mul_hi_u32 s5, s8, 0x348
	v_cvt_f32_f64_e32 v14, v[3:4]
	s_waitcnt lgkmcnt(0)
	v_mul_f32_e32 v15, v132, v10
	v_fmac_f32_e32 v15, v131, v9
	v_mul_f32_e32 v9, v132, v9
	v_fma_f32 v9, v131, v10, -v9
	v_cvt_f64_f32_e32 v[15:16], v15
	v_cvt_f64_f32_e32 v[9:10], v9
	v_lshlrev_b64 v[3:4], 3, v[31:32]
	s_add_i32 s5, s5, s4
	v_add_co_u32_e32 v18, vcc, s12, v3
	v_addc_co_u32_e32 v17, vcc, v17, v4, vcc
	v_mul_f64 v[3:4], v[15:16], s[2:3]
	v_mul_f64 v[9:10], v[9:10], s[2:3]
	v_add_co_u32_e32 v11, vcc, v18, v11
	s_mul_i32 s4, s8, 0x348
	v_addc_co_u32_e32 v12, vcc, v17, v12, vcc
	s_lshl_b64 s[4:5], s[4:5], 3
	v_cvt_f32_f64_e32 v3, v[3:4]
	v_cvt_f32_f64_e32 v4, v[9:10]
	v_mul_f32_e32 v9, v130, v6
	v_fmac_f32_e32 v9, v129, v5
	v_mul_f32_e32 v5, v130, v5
	v_fma_f32 v5, v129, v6, -v5
	v_cvt_f64_f32_e32 v[5:6], v5
	v_cvt_f64_f32_e32 v[9:10], v9
	global_store_dwordx2 v[11:12], v[13:14], off
	v_mov_b32_e32 v19, s5
	v_mul_f64 v[5:6], v[5:6], s[2:3]
	v_mul_f64 v[9:10], v[9:10], s[2:3]
	v_add_co_u32_e32 v13, vcc, s4, v11
	v_addc_co_u32_e32 v14, vcc, v12, v19, vcc
	global_store_dwordx2 v[13:14], v[3:4], off
	v_add_u32_e32 v3, 0x1c00, v143
	v_cvt_f32_f64_e32 v16, v[5:6]
	ds_read2_b64 v[3:6], v3 offset0:56 offset1:168
	v_cvt_f32_f64_e32 v15, v[9:10]
	s_mul_hi_u32 s7, s8, 0xfffffd28
	s_mul_i32 s6, s9, 0xfffffd28
	s_sub_i32 s7, s7, s8
	s_waitcnt lgkmcnt(0)
	v_mul_f32_e32 v9, v125, v4
	v_fmac_f32_e32 v9, v124, v3
	v_mul_f32_e32 v3, v125, v3
	v_fma_f32 v3, v124, v4, -v3
	v_cvt_f64_f32_e32 v[3:4], v3
	v_cvt_f64_f32_e32 v[9:10], v9
	s_add_i32 s7, s7, s6
	s_mul_i32 s6, s8, 0xfffffd28
	v_mul_f64 v[3:4], v[3:4], s[2:3]
	v_mul_f64 v[17:18], v[9:10], s[2:3]
	ds_read2_b64 v[9:12], v2 offset0:96 offset1:208
	s_lshl_b64 s[6:7], s[6:7], 3
	v_mov_b32_e32 v20, s7
	v_add_co_u32_e32 v13, vcc, s6, v13
	v_addc_co_u32_e32 v14, vcc, v14, v20, vcc
	v_cvt_f32_f64_e32 v3, v[3:4]
	s_waitcnt lgkmcnt(0)
	v_mul_f32_e32 v4, v123, v10
	v_fmac_f32_e32 v4, v122, v9
	global_store_dwordx2 v[13:14], v[15:16], off
	v_cvt_f64_f32_e32 v[15:16], v4
	v_mul_f32_e32 v4, v123, v9
	v_fma_f32 v4, v122, v10, -v4
	v_cvt_f64_f32_e32 v[9:10], v4
	v_mul_f64 v[15:16], v[15:16], s[2:3]
	v_mul_f32_e32 v4, v121, v6
	v_fmac_f32_e32 v4, v120, v5
	v_mul_f64 v[9:10], v[9:10], s[2:3]
	v_cvt_f32_f64_e32 v2, v[17:18]
	v_cvt_f64_f32_e32 v[17:18], v4
	v_mul_f32_e32 v4, v121, v5
	v_add_co_u32_e32 v13, vcc, s4, v13
	v_fma_f32 v4, v120, v6, -v4
	v_addc_co_u32_e32 v14, vcc, v14, v19, vcc
	v_cvt_f64_f32_e32 v[4:5], v4
	global_store_dwordx2 v[13:14], v[2:3], off
	v_cvt_f32_f64_e32 v2, v[15:16]
	v_mul_f64 v[15:16], v[17:18], s[2:3]
	v_cvt_f32_f64_e32 v3, v[9:10]
	v_mul_f64 v[4:5], v[4:5], s[2:3]
	v_add_co_u32_e32 v9, vcc, s6, v13
	v_addc_co_u32_e32 v10, vcc, v14, v20, vcc
	global_store_dwordx2 v[9:10], v[2:3], off
	v_mul_f32_e32 v2, v119, v12
	v_fmac_f32_e32 v2, v118, v11
	v_cvt_f32_f64_e32 v13, v[15:16]
	v_cvt_f64_f32_e32 v[15:16], v2
	v_mul_f32_e32 v2, v119, v11
	v_fma_f32 v2, v118, v12, -v2
	v_cvt_f64_f32_e32 v[11:12], v2
	v_add_u32_e32 v2, 0x2400, v143
	v_cvt_f32_f64_e32 v14, v[4:5]
	ds_read2_b64 v[2:5], v2 offset0:24 offset1:136
	v_add_co_u32_e32 v17, vcc, s4, v9
	v_addc_co_u32_e32 v18, vcc, v10, v19, vcc
	s_waitcnt lgkmcnt(0)
	v_mul_f32_e32 v6, v117, v3
	v_fmac_f32_e32 v6, v116, v2
	v_mul_f32_e32 v2, v117, v2
	v_mul_f64 v[9:10], v[15:16], s[2:3]
	v_mul_f64 v[11:12], v[11:12], s[2:3]
	v_fma_f32 v2, v116, v3, -v2
	v_cvt_f64_f32_e32 v[2:3], v2
	global_store_dwordx2 v[17:18], v[13:14], off
	v_cvt_f64_f32_e32 v[13:14], v6
	v_add_co_u32_e32 v17, vcc, s6, v17
	v_mul_f64 v[2:3], v[2:3], s[2:3]
	v_mul_f64 v[13:14], v[13:14], s[2:3]
	v_cvt_f32_f64_e32 v15, v[9:10]
	v_cvt_f32_f64_e32 v16, v[11:12]
	ds_read2_b64 v[9:12], v1 offset0:64 offset1:176
	v_addc_co_u32_e32 v18, vcc, v18, v20, vcc
	global_store_dwordx2 v[17:18], v[15:16], off
	v_cvt_f32_f64_e32 v2, v[2:3]
	s_waitcnt lgkmcnt(0)
	v_mul_f32_e32 v3, v115, v10
	v_fmac_f32_e32 v3, v114, v9
	v_cvt_f32_f64_e32 v1, v[13:14]
	v_cvt_f64_f32_e32 v[13:14], v3
	v_mul_f32_e32 v3, v115, v9
	v_fma_f32 v3, v114, v10, -v3
	v_cvt_f64_f32_e32 v[9:10], v3
	v_mul_f64 v[13:14], v[13:14], s[2:3]
	v_mul_f32_e32 v3, v113, v5
	v_add_co_u32_e32 v15, vcc, s4, v17
	v_mul_f64 v[9:10], v[9:10], s[2:3]
	v_fmac_f32_e32 v3, v112, v4
	v_addc_co_u32_e32 v16, vcc, v18, v19, vcc
	v_cvt_f64_f32_e32 v[17:18], v3
	v_mul_f32_e32 v3, v113, v4
	v_fma_f32 v3, v112, v5, -v3
	v_cvt_f64_f32_e32 v[3:4], v3
	global_store_dwordx2 v[15:16], v[1:2], off
	v_cvt_f32_f64_e32 v1, v[13:14]
	v_mul_f64 v[5:6], v[17:18], s[2:3]
	v_mul_f64 v[3:4], v[3:4], s[2:3]
	v_cvt_f32_f64_e32 v2, v[9:10]
	v_add_co_u32_e32 v9, vcc, s6, v15
	v_addc_co_u32_e32 v10, vcc, v16, v20, vcc
	global_store_dwordx2 v[9:10], v[1:2], off
	v_mul_f32_e32 v1, v111, v12
	v_fmac_f32_e32 v1, v110, v11
	v_cvt_f64_f32_e32 v[13:14], v1
	v_mul_f32_e32 v1, v111, v11
	v_fma_f32 v1, v110, v12, -v1
	v_cvt_f32_f64_e32 v5, v[5:6]
	v_cvt_f32_f64_e32 v6, v[3:4]
	v_cvt_f64_f32_e32 v[11:12], v1
	ds_read2_b64 v[0:3], v0 offset0:120 offset1:232
	v_mul_f64 v[13:14], v[13:14], s[2:3]
	v_add_co_u32_e32 v9, vcc, s4, v9
	v_mul_f64 v[11:12], v[11:12], s[2:3]
	s_waitcnt lgkmcnt(0)
	v_mul_f32_e32 v4, v109, v1
	v_fmac_f32_e32 v4, v108, v0
	v_mul_f32_e32 v0, v109, v0
	v_fma_f32 v0, v108, v1, -v0
	v_cvt_f64_f32_e32 v[0:1], v0
	v_cvt_f64_f32_e32 v[15:16], v4
	v_addc_co_u32_e32 v10, vcc, v10, v19, vcc
	v_mul_f64 v[0:1], v[0:1], s[2:3]
	global_store_dwordx2 v[9:10], v[5:6], off
	v_cvt_f32_f64_e32 v4, v[13:14]
	v_mul_f64 v[13:14], v[15:16], s[2:3]
	v_cvt_f32_f64_e32 v5, v[11:12]
	v_add_co_u32_e32 v9, vcc, s6, v9
	v_addc_co_u32_e32 v10, vcc, v10, v20, vcc
	v_mul_f32_e32 v6, v107, v7
	global_store_dwordx2 v[9:10], v[4:5], off
	v_cvt_f32_f64_e32 v5, v[0:1]
	v_mul_f32_e32 v0, v107, v8
	v_fma_f32 v6, v106, v8, -v6
	v_add_co_u32_e32 v8, vcc, s4, v9
	v_fmac_f32_e32 v0, v106, v7
	v_addc_co_u32_e32 v9, vcc, v10, v19, vcc
	v_mul_f32_e32 v10, v105, v3
	v_cvt_f64_f32_e32 v[0:1], v0
	v_cvt_f64_f32_e32 v[6:7], v6
	v_fmac_f32_e32 v10, v104, v2
	v_mul_f32_e32 v2, v105, v2
	v_fma_f32 v2, v104, v3, -v2
	v_cvt_f32_f64_e32 v4, v[13:14]
	v_cvt_f64_f32_e32 v[10:11], v10
	v_cvt_f64_f32_e32 v[2:3], v2
	v_mul_f64 v[0:1], v[0:1], s[2:3]
	v_mul_f64 v[6:7], v[6:7], s[2:3]
	global_store_dwordx2 v[8:9], v[4:5], off
	v_mul_f64 v[4:5], v[10:11], s[2:3]
	v_mul_f64 v[2:3], v[2:3], s[2:3]
	v_cvt_f32_f64_e32 v0, v[0:1]
	v_cvt_f32_f64_e32 v1, v[6:7]
	v_add_co_u32_e32 v6, vcc, s6, v8
	v_cvt_f32_f64_e32 v4, v[4:5]
	v_cvt_f32_f64_e32 v5, v[2:3]
	v_addc_co_u32_e32 v7, vcc, v9, v20, vcc
	global_store_dwordx2 v[6:7], v[0:1], off
	v_add_co_u32_e32 v0, vcc, s4, v6
	v_addc_co_u32_e32 v1, vcc, v7, v19, vcc
	global_store_dwordx2 v[0:1], v[4:5], off
	s_and_b64 exec, exec, s[0:1]
	s_cbranch_execz .LBB0_47
; %bb.46:
	v_add_co_u32_e32 v2, vcc, 0x1000, v141
	v_addc_co_u32_e32 v3, vcc, 0, v142, vcc
	global_load_dwordx2 v[2:3], v[2:3], off offset:2176
	ds_read_b64 v[4:5], v143 offset:6272
	ds_read_b64 v[6:7], v143 offset:12992
	v_add_co_u32_e32 v0, vcc, s6, v0
	s_movk_i32 s0, 0x3000
	s_waitcnt vmcnt(0) lgkmcnt(1)
	v_mul_f32_e32 v8, v5, v3
	v_mul_f32_e32 v3, v4, v3
	v_fmac_f32_e32 v8, v4, v2
	v_fma_f32 v4, v2, v5, -v3
	v_cvt_f64_f32_e32 v[2:3], v8
	v_cvt_f64_f32_e32 v[4:5], v4
	v_mov_b32_e32 v8, s7
	v_addc_co_u32_e32 v1, vcc, v1, v8, vcc
	v_mul_f64 v[2:3], v[2:3], s[2:3]
	v_mul_f64 v[4:5], v[4:5], s[2:3]
	v_cvt_f32_f64_e32 v2, v[2:3]
	v_cvt_f32_f64_e32 v3, v[4:5]
	v_add_co_u32_e32 v4, vcc, s0, v141
	v_addc_co_u32_e32 v5, vcc, 0, v142, vcc
	global_store_dwordx2 v[0:1], v[2:3], off
	global_load_dwordx2 v[2:3], v[4:5], off offset:704
	v_add_co_u32_e32 v0, vcc, s4, v0
	s_waitcnt vmcnt(0) lgkmcnt(0)
	v_mul_f32_e32 v4, v7, v3
	v_mul_f32_e32 v3, v6, v3
	v_fmac_f32_e32 v4, v6, v2
	v_fma_f32 v5, v2, v7, -v3
	v_cvt_f64_f32_e32 v[2:3], v4
	v_cvt_f64_f32_e32 v[4:5], v5
	v_mov_b32_e32 v6, s5
	v_addc_co_u32_e32 v1, vcc, v1, v6, vcc
	v_mul_f64 v[2:3], v[2:3], s[2:3]
	v_mul_f64 v[4:5], v[4:5], s[2:3]
	v_cvt_f32_f64_e32 v2, v[2:3]
	v_cvt_f32_f64_e32 v3, v[4:5]
	global_store_dwordx2 v[0:1], v[2:3], off
.LBB0_47:
	s_endpgm
	.section	.rodata,"a",@progbits
	.p2align	6, 0x0
	.amdhsa_kernel bluestein_single_fwd_len1680_dim1_sp_op_CI_CI
		.amdhsa_group_segment_fixed_size 13440
		.amdhsa_private_segment_fixed_size 0
		.amdhsa_kernarg_size 104
		.amdhsa_user_sgpr_count 6
		.amdhsa_user_sgpr_private_segment_buffer 1
		.amdhsa_user_sgpr_dispatch_ptr 0
		.amdhsa_user_sgpr_queue_ptr 0
		.amdhsa_user_sgpr_kernarg_segment_ptr 1
		.amdhsa_user_sgpr_dispatch_id 0
		.amdhsa_user_sgpr_flat_scratch_init 0
		.amdhsa_user_sgpr_private_segment_size 0
		.amdhsa_uses_dynamic_stack 0
		.amdhsa_system_sgpr_private_segment_wavefront_offset 0
		.amdhsa_system_sgpr_workgroup_id_x 1
		.amdhsa_system_sgpr_workgroup_id_y 0
		.amdhsa_system_sgpr_workgroup_id_z 0
		.amdhsa_system_sgpr_workgroup_info 0
		.amdhsa_system_vgpr_workitem_id 0
		.amdhsa_next_free_vgpr 217
		.amdhsa_next_free_sgpr 20
		.amdhsa_reserve_vcc 1
		.amdhsa_reserve_flat_scratch 0
		.amdhsa_float_round_mode_32 0
		.amdhsa_float_round_mode_16_64 0
		.amdhsa_float_denorm_mode_32 3
		.amdhsa_float_denorm_mode_16_64 3
		.amdhsa_dx10_clamp 1
		.amdhsa_ieee_mode 1
		.amdhsa_fp16_overflow 0
		.amdhsa_exception_fp_ieee_invalid_op 0
		.amdhsa_exception_fp_denorm_src 0
		.amdhsa_exception_fp_ieee_div_zero 0
		.amdhsa_exception_fp_ieee_overflow 0
		.amdhsa_exception_fp_ieee_underflow 0
		.amdhsa_exception_fp_ieee_inexact 0
		.amdhsa_exception_int_div_zero 0
	.end_amdhsa_kernel
	.text
.Lfunc_end0:
	.size	bluestein_single_fwd_len1680_dim1_sp_op_CI_CI, .Lfunc_end0-bluestein_single_fwd_len1680_dim1_sp_op_CI_CI
                                        ; -- End function
	.section	.AMDGPU.csdata,"",@progbits
; Kernel info:
; codeLenInByte = 17516
; NumSgprs: 24
; NumVgprs: 217
; ScratchSize: 0
; MemoryBound: 0
; FloatMode: 240
; IeeeMode: 1
; LDSByteSize: 13440 bytes/workgroup (compile time only)
; SGPRBlocks: 2
; VGPRBlocks: 54
; NumSGPRsForWavesPerEU: 24
; NumVGPRsForWavesPerEU: 217
; Occupancy: 1
; WaveLimiterHint : 1
; COMPUTE_PGM_RSRC2:SCRATCH_EN: 0
; COMPUTE_PGM_RSRC2:USER_SGPR: 6
; COMPUTE_PGM_RSRC2:TRAP_HANDLER: 0
; COMPUTE_PGM_RSRC2:TGID_X_EN: 1
; COMPUTE_PGM_RSRC2:TGID_Y_EN: 0
; COMPUTE_PGM_RSRC2:TGID_Z_EN: 0
; COMPUTE_PGM_RSRC2:TIDIG_COMP_CNT: 0
	.type	__hip_cuid_f7d53a866dad9ecd,@object ; @__hip_cuid_f7d53a866dad9ecd
	.section	.bss,"aw",@nobits
	.globl	__hip_cuid_f7d53a866dad9ecd
__hip_cuid_f7d53a866dad9ecd:
	.byte	0                               ; 0x0
	.size	__hip_cuid_f7d53a866dad9ecd, 1

	.ident	"AMD clang version 19.0.0git (https://github.com/RadeonOpenCompute/llvm-project roc-6.4.0 25133 c7fe45cf4b819c5991fe208aaa96edf142730f1d)"
	.section	".note.GNU-stack","",@progbits
	.addrsig
	.addrsig_sym __hip_cuid_f7d53a866dad9ecd
	.amdgpu_metadata
---
amdhsa.kernels:
  - .args:
      - .actual_access:  read_only
        .address_space:  global
        .offset:         0
        .size:           8
        .value_kind:     global_buffer
      - .actual_access:  read_only
        .address_space:  global
        .offset:         8
        .size:           8
        .value_kind:     global_buffer
      - .actual_access:  read_only
        .address_space:  global
        .offset:         16
        .size:           8
        .value_kind:     global_buffer
      - .actual_access:  read_only
        .address_space:  global
        .offset:         24
        .size:           8
        .value_kind:     global_buffer
      - .actual_access:  read_only
        .address_space:  global
        .offset:         32
        .size:           8
        .value_kind:     global_buffer
      - .offset:         40
        .size:           8
        .value_kind:     by_value
      - .address_space:  global
        .offset:         48
        .size:           8
        .value_kind:     global_buffer
      - .address_space:  global
        .offset:         56
        .size:           8
        .value_kind:     global_buffer
      - .address_space:  global
        .offset:         64
        .size:           8
        .value_kind:     global_buffer
      - .address_space:  global
        .offset:         72
        .size:           8
        .value_kind:     global_buffer
      - .offset:         80
        .size:           4
        .value_kind:     by_value
      - .address_space:  global
        .offset:         88
        .size:           8
        .value_kind:     global_buffer
      - .address_space:  global
        .offset:         96
        .size:           8
        .value_kind:     global_buffer
    .group_segment_fixed_size: 13440
    .kernarg_segment_align: 8
    .kernarg_segment_size: 104
    .language:       OpenCL C
    .language_version:
      - 2
      - 0
    .max_flat_workgroup_size: 112
    .name:           bluestein_single_fwd_len1680_dim1_sp_op_CI_CI
    .private_segment_fixed_size: 0
    .sgpr_count:     24
    .sgpr_spill_count: 0
    .symbol:         bluestein_single_fwd_len1680_dim1_sp_op_CI_CI.kd
    .uniform_work_group_size: 1
    .uses_dynamic_stack: false
    .vgpr_count:     217
    .vgpr_spill_count: 0
    .wavefront_size: 64
amdhsa.target:   amdgcn-amd-amdhsa--gfx906
amdhsa.version:
  - 1
  - 2
...

	.end_amdgpu_metadata
